;; amdgpu-corpus repo=ROCm/rocFFT kind=compiled arch=gfx950 opt=O3
	.text
	.amdgcn_target "amdgcn-amd-amdhsa--gfx950"
	.amdhsa_code_object_version 6
	.protected	fft_rtc_fwd_len320_factors_10_4_4_2_wgs_64_tpt_16_halfLds_half_op_CI_CI_sbrr_dirReg ; -- Begin function fft_rtc_fwd_len320_factors_10_4_4_2_wgs_64_tpt_16_halfLds_half_op_CI_CI_sbrr_dirReg
	.globl	fft_rtc_fwd_len320_factors_10_4_4_2_wgs_64_tpt_16_halfLds_half_op_CI_CI_sbrr_dirReg
	.p2align	8
	.type	fft_rtc_fwd_len320_factors_10_4_4_2_wgs_64_tpt_16_halfLds_half_op_CI_CI_sbrr_dirReg,@function
fft_rtc_fwd_len320_factors_10_4_4_2_wgs_64_tpt_16_halfLds_half_op_CI_CI_sbrr_dirReg: ; @fft_rtc_fwd_len320_factors_10_4_4_2_wgs_64_tpt_16_halfLds_half_op_CI_CI_sbrr_dirReg
; %bb.0:
	s_load_dwordx4 s[12:15], s[0:1], 0x18
	s_load_dwordx4 s[8:11], s[0:1], 0x0
	;; [unrolled: 1-line block ×3, first 2 shown]
	v_lshrrev_b32_e32 v1, 4, v0
	v_lshl_or_b32 v6, s2, 2, v1
	s_waitcnt lgkmcnt(0)
	s_load_dwordx2 s[18:19], s[12:13], 0x0
	s_load_dwordx2 s[16:17], s[14:15], 0x0
	v_mov_b32_e32 v4, 0
	v_cmp_lt_u64_e64 s[2:3], s[10:11], 2
	v_mov_b32_e32 v7, v4
	s_and_b64 vcc, exec, s[2:3]
	v_mov_b64_e32 v[2:3], 0
	s_cbranch_vccnz .LBB0_8
; %bb.1:
	s_load_dwordx2 s[2:3], s[0:1], 0x10
	s_add_u32 s20, s14, 8
	s_addc_u32 s21, s15, 0
	s_add_u32 s22, s12, 8
	s_addc_u32 s23, s13, 0
	s_waitcnt lgkmcnt(0)
	s_add_u32 s24, s2, 8
	v_mov_b64_e32 v[2:3], 0
	s_addc_u32 s25, s3, 0
	s_mov_b64 s[26:27], 1
	v_mov_b64_e32 v[8:9], v[2:3]
.LBB0_2:                                ; =>This Inner Loop Header: Depth=1
	s_load_dwordx2 s[28:29], s[24:25], 0x0
                                        ; implicit-def: $vgpr12_vgpr13
	s_waitcnt lgkmcnt(0)
	v_or_b32_e32 v5, s29, v7
	v_cmp_ne_u64_e32 vcc, 0, v[4:5]
	s_and_saveexec_b64 s[2:3], vcc
	s_xor_b64 s[30:31], exec, s[2:3]
	s_cbranch_execz .LBB0_4
; %bb.3:                                ;   in Loop: Header=BB0_2 Depth=1
	v_cvt_f32_u32_e32 v5, s28
	v_cvt_f32_u32_e32 v10, s29
	s_sub_u32 s2, 0, s28
	s_subb_u32 s3, 0, s29
	v_fmac_f32_e32 v5, 0x4f800000, v10
	v_rcp_f32_e32 v5, v5
	s_nop 0
	v_mul_f32_e32 v5, 0x5f7ffffc, v5
	v_mul_f32_e32 v10, 0x2f800000, v5
	v_trunc_f32_e32 v10, v10
	v_fmac_f32_e32 v5, 0xcf800000, v10
	v_cvt_u32_f32_e32 v14, v10
	v_cvt_u32_f32_e32 v5, v5
	v_mul_lo_u32 v10, s2, v14
	v_mul_hi_u32 v12, s2, v5
	v_mul_lo_u32 v11, s3, v5
	v_add_u32_e32 v12, v12, v10
	v_mul_lo_u32 v15, s2, v5
	v_add_u32_e32 v16, v12, v11
	v_mul_hi_u32 v10, v5, v15
	v_mul_hi_u32 v13, v5, v16
	v_mul_lo_u32 v12, v5, v16
	v_mov_b32_e32 v11, v4
	v_lshl_add_u64 v[10:11], v[10:11], 0, v[12:13]
	v_mul_hi_u32 v13, v14, v15
	v_mul_lo_u32 v15, v14, v15
	v_add_co_u32_e32 v10, vcc, v10, v15
	v_mul_hi_u32 v12, v14, v16
	s_nop 0
	v_addc_co_u32_e32 v10, vcc, v11, v13, vcc
	v_mov_b32_e32 v11, v4
	s_nop 0
	v_addc_co_u32_e32 v13, vcc, 0, v12, vcc
	v_mul_lo_u32 v12, v14, v16
	v_lshl_add_u64 v[10:11], v[10:11], 0, v[12:13]
	v_add_co_u32_e32 v5, vcc, v5, v10
	v_mul_lo_u32 v12, s2, v5
	s_nop 0
	v_addc_co_u32_e32 v14, vcc, v14, v11, vcc
	v_mul_lo_u32 v10, s2, v14
	v_mul_hi_u32 v11, s2, v5
	v_add_u32_e32 v10, v11, v10
	v_mul_lo_u32 v11, s3, v5
	v_add_u32_e32 v15, v10, v11
	v_mul_hi_u32 v17, v14, v12
	v_mul_lo_u32 v18, v14, v12
	v_mul_hi_u32 v11, v5, v15
	v_mul_lo_u32 v10, v5, v15
	v_mul_hi_u32 v12, v5, v12
	v_mov_b32_e32 v13, v4
	v_lshl_add_u64 v[10:11], v[12:13], 0, v[10:11]
	v_add_co_u32_e32 v10, vcc, v10, v18
	v_mul_hi_u32 v16, v14, v15
	s_nop 0
	v_addc_co_u32_e32 v10, vcc, v11, v17, vcc
	v_mul_lo_u32 v12, v14, v15
	s_nop 0
	v_addc_co_u32_e32 v13, vcc, 0, v16, vcc
	v_mov_b32_e32 v11, v4
	v_lshl_add_u64 v[10:11], v[10:11], 0, v[12:13]
	v_add_co_u32_e32 v5, vcc, v5, v10
	v_mul_hi_u32 v12, v6, v5
	s_nop 0
	v_addc_co_u32_e32 v14, vcc, v14, v11, vcc
	v_mad_u64_u32 v[10:11], s[2:3], v6, v14, 0
	v_mov_b32_e32 v13, v4
	v_lshl_add_u64 v[10:11], v[12:13], 0, v[10:11]
	v_mad_u64_u32 v[12:13], s[2:3], v7, v14, 0
	v_mad_u64_u32 v[14:15], s[2:3], v7, v5, 0
	v_add_co_u32_e32 v5, vcc, v10, v14
	s_nop 1
	v_addc_co_u32_e32 v10, vcc, v11, v15, vcc
	v_mov_b32_e32 v11, v4
	s_nop 0
	v_addc_co_u32_e32 v13, vcc, 0, v13, vcc
	v_lshl_add_u64 v[10:11], v[10:11], 0, v[12:13]
	v_mul_lo_u32 v5, s29, v10
	v_mul_lo_u32 v14, s28, v11
	v_mad_u64_u32 v[12:13], s[2:3], s28, v10, 0
	v_add3_u32 v5, v13, v14, v5
	v_sub_u32_e32 v13, v7, v5
	v_mov_b32_e32 v14, s29
	v_sub_co_u32_e32 v16, vcc, v6, v12
	s_nop 1
	v_subb_co_u32_e64 v12, s[2:3], v13, v14, vcc
	v_subrev_co_u32_e64 v13, s[2:3], s28, v16
	v_subb_co_u32_e32 v5, vcc, v7, v5, vcc
	s_nop 0
	v_subbrev_co_u32_e64 v12, s[2:3], 0, v12, s[2:3]
	v_cmp_le_u32_e64 s[2:3], s29, v12
	v_cmp_le_u32_e32 vcc, s29, v5
	s_nop 0
	v_cndmask_b32_e64 v14, 0, -1, s[2:3]
	v_cmp_le_u32_e64 s[2:3], s28, v13
	s_nop 1
	v_cndmask_b32_e64 v13, 0, -1, s[2:3]
	v_cmp_eq_u32_e64 s[2:3], s29, v12
	s_nop 1
	v_cndmask_b32_e64 v17, v14, v13, s[2:3]
	v_lshl_add_u64 v[12:13], v[10:11], 0, 2
	v_lshl_add_u64 v[14:15], v[10:11], 0, 1
	v_cmp_ne_u32_e64 s[2:3], 0, v17
	s_nop 1
	v_cndmask_b32_e64 v13, v15, v13, s[2:3]
	v_cndmask_b32_e64 v15, 0, -1, vcc
	v_cmp_le_u32_e32 vcc, s28, v16
	s_nop 1
	v_cndmask_b32_e64 v16, 0, -1, vcc
	v_cmp_eq_u32_e32 vcc, s29, v5
	s_nop 1
	v_cndmask_b32_e32 v5, v15, v16, vcc
	v_cmp_ne_u32_e32 vcc, 0, v5
	v_cndmask_b32_e64 v5, v14, v12, s[2:3]
	s_nop 0
	v_cndmask_b32_e32 v13, v11, v13, vcc
	v_cndmask_b32_e32 v12, v10, v5, vcc
.LBB0_4:                                ;   in Loop: Header=BB0_2 Depth=1
	s_andn2_saveexec_b64 s[2:3], s[30:31]
	s_cbranch_execz .LBB0_6
; %bb.5:                                ;   in Loop: Header=BB0_2 Depth=1
	v_cvt_f32_u32_e32 v5, s28
	s_sub_i32 s30, 0, s28
	v_mov_b32_e32 v13, v4
	v_rcp_iflag_f32_e32 v5, v5
	s_nop 0
	v_mul_f32_e32 v5, 0x4f7ffffe, v5
	v_cvt_u32_f32_e32 v5, v5
	v_mul_lo_u32 v10, s30, v5
	v_mul_hi_u32 v10, v5, v10
	v_add_u32_e32 v5, v5, v10
	v_mul_hi_u32 v5, v6, v5
	v_mul_lo_u32 v10, v5, s28
	v_sub_u32_e32 v10, v6, v10
	v_add_u32_e32 v11, 1, v5
	v_subrev_u32_e32 v12, s28, v10
	v_cmp_le_u32_e32 vcc, s28, v10
	s_nop 1
	v_cndmask_b32_e32 v10, v10, v12, vcc
	v_cndmask_b32_e32 v5, v5, v11, vcc
	v_add_u32_e32 v11, 1, v5
	v_cmp_le_u32_e32 vcc, s28, v10
	s_nop 1
	v_cndmask_b32_e32 v12, v5, v11, vcc
.LBB0_6:                                ;   in Loop: Header=BB0_2 Depth=1
	s_or_b64 exec, exec, s[2:3]
	v_mad_u64_u32 v[10:11], s[2:3], v12, s28, 0
	s_load_dwordx2 s[2:3], s[22:23], 0x0
	v_mul_lo_u32 v5, v13, s28
	v_mul_lo_u32 v14, v12, s29
	s_load_dwordx2 s[28:29], s[20:21], 0x0
	s_add_u32 s26, s26, 1
	v_add3_u32 v5, v11, v14, v5
	v_sub_co_u32_e32 v6, vcc, v6, v10
	s_addc_u32 s27, s27, 0
	s_nop 0
	v_subb_co_u32_e32 v5, vcc, v7, v5, vcc
	s_add_u32 s20, s20, 8
	s_waitcnt lgkmcnt(0)
	v_mul_lo_u32 v7, s2, v5
	v_mul_lo_u32 v10, s3, v6
	v_mad_u64_u32 v[2:3], s[2:3], s2, v6, v[2:3]
	s_addc_u32 s21, s21, 0
	v_add3_u32 v3, v10, v3, v7
	v_mul_lo_u32 v5, s28, v5
	v_mul_lo_u32 v7, s29, v6
	v_mad_u64_u32 v[8:9], s[2:3], s28, v6, v[8:9]
	s_add_u32 s22, s22, 8
	v_add3_u32 v9, v7, v9, v5
	s_addc_u32 s23, s23, 0
	v_mov_b64_e32 v[6:7], s[10:11]
	s_add_u32 s24, s24, 8
	v_cmp_ge_u64_e32 vcc, s[26:27], v[6:7]
	s_addc_u32 s25, s25, 0
	s_cbranch_vccnz .LBB0_9
; %bb.7:                                ;   in Loop: Header=BB0_2 Depth=1
	v_mov_b64_e32 v[6:7], v[12:13]
	s_branch .LBB0_2
.LBB0_8:
	v_mov_b64_e32 v[8:9], v[2:3]
	v_mov_b64_e32 v[12:13], v[6:7]
.LBB0_9:
	s_load_dwordx2 s[0:1], s[0:1], 0x28
	s_lshl_b64 s[10:11], s[10:11], 3
	s_add_u32 s2, s14, s10
	s_addc_u32 s3, s15, s11
	v_and_b32_e32 v10, 15, v0
	s_waitcnt lgkmcnt(0)
	v_cmp_gt_u64_e32 vcc, s[0:1], v[12:13]
	v_cmp_le_u64_e64 s[0:1], s[0:1], v[12:13]
                                        ; implicit-def: $vgpr18
                                        ; implicit-def: $vgpr26
                                        ; implicit-def: $vgpr20
                                        ; implicit-def: $vgpr14
                                        ; implicit-def: $vgpr28
                                        ; implicit-def: $vgpr24
                                        ; implicit-def: $vgpr22
                                        ; implicit-def: $vgpr16
                                        ; implicit-def: $vgpr30
	s_and_saveexec_b64 s[14:15], s[0:1]
	s_xor_b64 s[0:1], exec, s[14:15]
; %bb.10:
	v_and_b32_e32 v10, 15, v0
	v_or_b32_e32 v18, 16, v10
	v_or_b32_e32 v26, 0x50, v10
	;; [unrolled: 1-line block ×9, first 2 shown]
                                        ; implicit-def: $vgpr2_vgpr3
; %bb.11:
	s_or_saveexec_b64 s[0:1], s[0:1]
                                        ; implicit-def: $vgpr42
                                        ; implicit-def: $vgpr0
                                        ; implicit-def: $vgpr43
                                        ; implicit-def: $vgpr35
                                        ; implicit-def: $vgpr44
                                        ; implicit-def: $vgpr19
                                        ; implicit-def: $vgpr45
                                        ; implicit-def: $vgpr34
                                        ; implicit-def: $vgpr46
                                        ; implicit-def: $vgpr39
                                        ; implicit-def: $vgpr27
                                        ; implicit-def: $vgpr40
                                        ; implicit-def: $vgpr29
                                        ; implicit-def: $vgpr25
                                        ; implicit-def: $vgpr32
                                        ; implicit-def: $vgpr23
                                        ; implicit-def: $vgpr33
                                        ; implicit-def: $vgpr4
                                        ; implicit-def: $vgpr41
                                        ; implicit-def: $vgpr31
                                        ; implicit-def: $vgpr5
                                        ; implicit-def: $vgpr6
                                        ; implicit-def: $vgpr21
                                        ; implicit-def: $vgpr17
                                        ; implicit-def: $vgpr47
                                        ; implicit-def: $vgpr36
                                        ; implicit-def: $vgpr37
                                        ; implicit-def: $vgpr11
                                        ; implicit-def: $vgpr38
                                        ; implicit-def: $vgpr7
	s_xor_b64 exec, exec, s[0:1]
	s_cbranch_execz .LBB0_13
; %bb.12:
	s_add_u32 s10, s12, s10
	s_addc_u32 s11, s13, s11
	s_load_dwordx2 s[10:11], s[10:11], 0x0
	v_or_b32_e32 v16, 64, v10
	v_or_b32_e32 v20, 0x60, v10
	;; [unrolled: 1-line block ×4, first 2 shown]
	s_waitcnt lgkmcnt(0)
	v_mul_lo_u32 v0, s11, v12
	v_mul_lo_u32 v6, s10, v13
	v_mad_u64_u32 v[4:5], s[10:11], s10, v12, 0
	v_add3_u32 v5, v5, v6, v0
	v_mad_u64_u32 v[6:7], s[10:11], s18, v10, 0
	v_mov_b32_e32 v0, v7
	v_mad_u64_u32 v[14:15], s[10:11], s19, v10, v[0:1]
	v_lshl_add_u64 v[4:5], v[4:5], 2, s[4:5]
	v_mov_b32_e32 v7, v14
	v_lshl_add_u64 v[2:3], v[2:3], 2, v[4:5]
	v_lshl_add_u64 v[4:5], v[6:7], 2, v[2:3]
	v_or_b32_e32 v14, 32, v10
	global_load_dword v0, v[4:5], off
	v_mad_u64_u32 v[4:5], s[4:5], s18, v14, 0
	v_mov_b32_e32 v6, v5
	v_mad_u64_u32 v[6:7], s[4:5], s19, v14, v[6:7]
	v_mov_b32_e32 v5, v6
	v_mad_u64_u32 v[6:7], s[4:5], s18, v16, 0
	v_mov_b32_e32 v18, v7
	v_mad_u64_u32 v[18:19], s[4:5], s19, v16, v[18:19]
	v_mov_b32_e32 v7, v18
	v_lshl_add_u64 v[24:25], v[6:7], 2, v[2:3]
	v_mad_u64_u32 v[6:7], s[4:5], s18, v20, 0
	v_mov_b32_e32 v18, v7
	v_mad_u64_u32 v[18:19], s[4:5], s19, v20, v[18:19]
	v_mov_b32_e32 v7, v18
	v_lshl_add_u64 v[26:27], v[6:7], 2, v[2:3]
	v_mad_u64_u32 v[6:7], s[4:5], s18, v22, 0
	v_mov_b32_e32 v18, v7
	v_mad_u64_u32 v[18:19], s[4:5], s19, v22, v[18:19]
	v_mov_b32_e32 v7, v18
	;; [unrolled: 5-line block ×3, first 2 shown]
	v_or_b32_e32 v11, 0xc0, v10
	v_lshl_add_u64 v[30:31], v[6:7], 2, v[2:3]
	v_mad_u64_u32 v[6:7], s[4:5], s18, v11, 0
	v_mov_b32_e32 v18, v7
	v_mad_u64_u32 v[18:19], s[4:5], s19, v11, v[18:19]
	v_mov_b32_e32 v7, v18
	v_or_b32_e32 v11, 0xe0, v10
	v_lshl_add_u64 v[32:33], v[6:7], 2, v[2:3]
	v_mad_u64_u32 v[6:7], s[4:5], s18, v11, 0
	v_mov_b32_e32 v18, v7
	v_mad_u64_u32 v[18:19], s[4:5], s19, v11, v[18:19]
	v_mov_b32_e32 v7, v18
	;; [unrolled: 6-line block ×4, first 2 shown]
	v_lshl_add_u64 v[4:5], v[4:5], 2, v[2:3]
	v_lshl_add_u64 v[44:45], v[6:7], 2, v[2:3]
	global_load_dword v11, v[38:39], off
	global_load_dword v34, v[32:33], off
	;; [unrolled: 1-line block ×7, first 2 shown]
	v_or_b32_e32 v18, 16, v10
	v_mad_u64_u32 v[4:5], s[4:5], s18, v18, 0
	v_mov_b32_e32 v6, v5
	v_or_b32_e32 v15, 0xb0, v10
	s_waitcnt vmcnt(0)
	v_mad_u64_u32 v[24:25], s[4:5], s19, v18, v[6:7]
	v_mov_b32_e32 v5, v24
	v_lshl_add_u64 v[4:5], v[4:5], 2, v[2:3]
	v_or_b32_e32 v24, 48, v10
	global_load_dword v39, v[42:43], off
	global_load_dword v38, v[44:45], off
	;; [unrolled: 1-line block ×3, first 2 shown]
	v_mad_u64_u32 v[4:5], s[4:5], s18, v24, 0
	v_mov_b32_e32 v6, v5
	v_mad_u64_u32 v[26:27], s[4:5], s19, v24, v[6:7]
	v_mov_b32_e32 v5, v26
	v_or_b32_e32 v26, 0x50, v10
	v_lshl_add_u64 v[32:33], v[4:5], 2, v[2:3]
	v_mad_u64_u32 v[4:5], s[4:5], s18, v26, 0
	v_mov_b32_e32 v6, v5
	v_mad_u64_u32 v[28:29], s[4:5], s19, v26, v[6:7]
	v_mov_b32_e32 v5, v28
	v_or_b32_e32 v28, 0x70, v10
	v_lshl_add_u64 v[42:43], v[4:5], 2, v[2:3]
	;; [unrolled: 6-line block ×3, first 2 shown]
	v_mad_u64_u32 v[4:5], s[4:5], s18, v30, 0
	v_mov_b32_e32 v6, v5
	v_mad_u64_u32 v[46:47], s[4:5], s19, v30, v[6:7]
	v_mov_b32_e32 v5, v46
	v_lshl_add_u64 v[48:49], v[4:5], 2, v[2:3]
	v_mad_u64_u32 v[4:5], s[4:5], s18, v15, 0
	v_mov_b32_e32 v6, v5
	v_mad_u64_u32 v[46:47], s[4:5], s19, v15, v[6:7]
	v_mov_b32_e32 v5, v46
	v_or_b32_e32 v15, 0xd0, v10
	v_lshl_add_u64 v[50:51], v[4:5], 2, v[2:3]
	v_mad_u64_u32 v[4:5], s[4:5], s18, v15, 0
	v_mov_b32_e32 v6, v5
	v_mad_u64_u32 v[46:47], s[4:5], s19, v15, v[6:7]
	v_mov_b32_e32 v5, v46
	v_lshl_add_u64 v[4:5], v[4:5], 2, v[2:3]
	global_load_dword v4, v[4:5], off
	v_or_b32_e32 v5, 0xf0, v10
	v_mad_u64_u32 v[46:47], s[4:5], s18, v5, 0
	v_mov_b32_e32 v6, v47
	v_mad_u64_u32 v[52:53], s[4:5], s19, v5, v[6:7]
	v_mov_b32_e32 v47, v52
	v_or_b32_e32 v5, 0x110, v10
	v_lshl_add_u64 v[52:53], v[46:47], 2, v[2:3]
	v_mad_u64_u32 v[46:47], s[4:5], s18, v5, 0
	v_mov_b32_e32 v6, v47
	v_mad_u64_u32 v[54:55], s[4:5], s19, v5, v[6:7]
	v_mov_b32_e32 v47, v54
	v_or_b32_e32 v5, 0x130, v10
	v_lshl_add_u64 v[54:55], v[46:47], 2, v[2:3]
	v_mad_u64_u32 v[46:47], s[4:5], s18, v5, 0
	v_mov_b32_e32 v6, v47
	v_mad_u64_u32 v[56:57], s[4:5], s19, v5, v[6:7]
	v_mov_b32_e32 v47, v56
	v_lshl_add_u64 v[2:3], v[46:47], 2, v[2:3]
	global_load_dword v5, v[50:51], off
	global_load_dword v23, v[48:49], off
	;; [unrolled: 1-line block ×8, first 2 shown]
	v_lshrrev_b32_e32 v42, 16, v0
	v_lshrrev_b32_e32 v43, 16, v35
	;; [unrolled: 1-line block ×4, first 2 shown]
	s_waitcnt vmcnt(11)
	v_lshrrev_b32_e32 v46, 16, v39
	s_waitcnt vmcnt(9)
	v_lshrrev_b32_e32 v27, 16, v40
	;; [unrolled: 2-line block ×6, first 2 shown]
.LBB0_13:
	s_or_b64 exec, exec, s[0:1]
	v_add_f16_e32 v2, v19, v34
	v_fma_f16 v2, v2, -0.5, v0
	v_sub_f16_e32 v3, v43, v46
	s_movk_i32 s0, 0x3b9c
	s_mov_b32 s10, 0xbb9c
	v_fma_f16 v15, v3, s0, v2
	v_sub_f16_e32 v48, v44, v45
	s_movk_i32 s1, 0x38b4
	v_sub_f16_e32 v49, v35, v19
	v_sub_f16_e32 v50, v39, v34
	v_fma_f16 v2, v3, s10, v2
	s_mov_b32 s5, 0xb8b4
	v_fma_f16 v15, v48, s1, v15
	v_add_f16_e32 v49, v49, v50
	s_movk_i32 s4, 0x34f2
	v_fma_f16 v2, v48, s5, v2
	v_fma_f16 v15, v49, s4, v15
	;; [unrolled: 1-line block ×3, first 2 shown]
	v_add_f16_e32 v49, v36, v11
	v_pk_add_f16 v50, v37, v38 neg_lo:[0,1] neg_hi:[0,1]
	v_fma_f16 v49, v49, -0.5, v7
	v_lshrrev_b32_e32 v51, 16, v50
	v_pk_add_f16 v52, v37, v36 neg_lo:[0,1] neg_hi:[0,1]
	v_pk_add_f16 v53, v38, v11 neg_lo:[0,1] neg_hi:[0,1]
	s_mov_b32 s11, 0xffff
	v_pk_add_f16 v52, v52, v53
	v_fma_f16 v53, v51, s0, v49
	v_fma_f16 v49, v51, s10, v49
	v_pk_add_f16 v51, v36, v11 neg_lo:[0,1] neg_hi:[0,1]
	s_mov_b32 s13, 0x38b434f2
	v_bfi_b32 v52, s11, v52, v51
	v_pk_mul_f16 v52, v52, s13
	v_sub_f16_sdwa v54, v38, v11 dst_sel:DWORD dst_unused:UNUSED_PAD src0_sel:WORD_1 src1_sel:WORD_1
	v_add_f16_sdwa v53, v52, v53 dst_sel:DWORD dst_unused:UNUSED_PAD src0_sel:WORD_1 src1_sel:DWORD
	v_sub_f16_sdwa v49, v49, v52 dst_sel:DWORD dst_unused:UNUSED_PAD src0_sel:DWORD src1_sel:WORD_1
	v_add_f16_e32 v53, v52, v53
	v_add_f16_e32 v49, v52, v49
	v_sub_f16_sdwa v52, v37, v36 dst_sel:DWORD dst_unused:UNUSED_PAD src0_sel:WORD_1 src1_sel:WORD_1
	v_add_f16_e32 v52, v52, v54
	v_lshrrev_b32_e32 v54, 16, v7
	v_add_f16_sdwa v55, v36, v11 dst_sel:DWORD dst_unused:UNUSED_PAD src0_sel:WORD_1 src1_sel:WORD_1
	v_fma_f16 v55, v55, -0.5, v54
	v_fma_f16 v56, v50, s10, v55
	v_fma_f16 v55, v50, s0, v55
	;; [unrolled: 1-line block ×6, first 2 shown]
	v_add_f16_e32 v55, v0, v35
	v_add_f16_e32 v57, v7, v37
	;; [unrolled: 1-line block ×9, first 2 shown]
	v_sub_f16_e32 v55, v55, v57
	s_movk_i32 s12, 0x3a79
	v_mul_f16_e32 v57, 0x38b4, v56
	v_fma_f16 v57, v53, s12, v57
	v_add_f16_e32 v59, v15, v57
	v_sub_f16_e32 v57, v15, v57
	v_mul_f16_e32 v15, 0x3a79, v49
	v_fma_f16 v15, v52, s1, -v15
	v_add_f16_e32 v60, v2, v15
	v_sub_f16_e32 v2, v2, v15
	v_sub_f16_e32 v15, v25, v23
	;; [unrolled: 1-line block ×3, first 2 shown]
	v_add_f16_e32 v61, v15, v61
	v_sub_f16_e32 v15, v23, v25
	v_sub_f16_e32 v62, v4, v31
	v_add_f16_e32 v15, v15, v62
	v_add_f16_e32 v62, v25, v31
	v_fma_f16 v62, v62, -0.5, v40
	v_sub_f16_e32 v64, v32, v33
	v_sub_f16_e32 v63, v29, v41
	v_fma_f16 v65, v64, s10, v62
	v_fma_f16 v62, v64, s0, v62
	;; [unrolled: 1-line block ×6, first 2 shown]
	v_pk_add_f16 v15, v6, v5 neg_lo:[0,1] neg_hi:[0,1]
	s_waitcnt vmcnt(0)
	v_pk_add_f16 v66, v17, v21 neg_lo:[0,1] neg_hi:[0,1]
	v_sub_f16_sdwa v67, v17, v21 dst_sel:DWORD dst_unused:UNUSED_PAD src0_sel:WORD_1 src1_sel:WORD_1
	v_pk_add_f16 v66, v15, v66
	v_sub_f16_sdwa v15, v6, v5 dst_sel:DWORD dst_unused:UNUSED_PAD src0_sel:WORD_1 src1_sel:WORD_1
	v_mul_u32_u24_e32 v1, 0x140, v1
	v_add_f16_e32 v67, v15, v67
	v_lshlrev_b32_e32 v15, 1, v1
	v_pack_b32_f16 v58, v58, v59
	v_mul_u32_u24_e32 v1, 10, v10
	v_add_u32_e32 v59, 0, v15
	v_lshl_add_u32 v1, v1, 1, v59
	v_pack_b32_f16 v55, v60, v55
	ds_write_b32 v1, v58
	ds_write_b32 v1, v55 offset:8
	ds_write_b16 v1, v57 offset:12
	ds_write_b16 v1, v2 offset:18
	v_pk_add_f16 v2, v5, v6 neg_lo:[0,1] neg_hi:[0,1]
	v_pk_add_f16 v55, v21, v17 neg_lo:[0,1] neg_hi:[0,1]
	;; [unrolled: 1-line block ×3, first 2 shown]
	v_pk_add_f16 v2, v2, v55
	v_pk_add_f16 v55, v6, v17
	v_pk_mul_f16 v58, v57, s0 op_sel_hi:[1,0]
	v_pk_fma_f16 v55, v55, 0.5, v47 op_sel_hi:[1,0,1] neg_lo:[1,0,0] neg_hi:[1,0,0]
	v_add_f16_e32 v73, v5, v21
	v_pk_add_f16 v60, v58, v55 op_sel:[1,0] op_sel_hi:[0,1]
	v_pk_add_f16 v55, v55, v58 op_sel:[0,1] op_sel_hi:[1,0] neg_lo:[0,1] neg_hi:[0,1]
	v_pk_add_f16 v58, v6, v17 neg_lo:[0,1] neg_hi:[0,1]
	v_add_f16_e32 v72, v47, v6
	v_pk_mul_f16 v68, v58, s1 op_sel_hi:[1,0]
	v_fma_f16 v73, v73, -0.5, v47
	v_pk_add_f16 v60, v60, v68 op_sel:[0,1] op_sel_hi:[1,0] neg_lo:[0,1] neg_hi:[0,1]
	v_pk_add_f16 v55, v68, v55 op_sel:[1,0] op_sel_hi:[0,1]
	v_pk_fma_f16 v60, v2, s4, v60 op_sel_hi:[1,0,1]
	v_pk_fma_f16 v2, v2, s4, v55 op_sel_hi:[1,0,1]
	v_lshrrev_b32_e32 v68, 16, v60
	v_mul_f16_e32 v55, 0x34f2, v2
	v_fma_f16 v55, v68, s0, v55
	v_mul_f16_e32 v68, 0x34f2, v60
	v_lshrrev_b32_e32 v69, 16, v2
	v_fma_f16 v68, v69, s0, -v68
	v_add_f16_e32 v69, v65, v55
	v_add_f16_e32 v70, v62, v68
	v_lshrrev_b32_e32 v47, 16, v47
	v_add_f16_sdwa v76, v5, v21 dst_sel:DWORD dst_unused:UNUSED_PAD src0_sel:WORD_1 src1_sel:WORD_1
	v_pack_b32_f16 v69, v69, v70
	v_add_f16_e32 v70, v23, v4
	v_fma_f16 v76, v76, -0.5, v47
	v_fma_f16 v70, v70, -0.5, v40
	v_bfi_b32 v66, s11, v66, v57
	v_lshrrev_b32_e32 v74, 16, v58
	v_fma_f16 v77, v58, s10, v76
	v_fma_f16 v71, v63, s0, v70
	v_pk_mul_f16 v66, v66, s13
	v_fma_f16 v75, v74, s0, v73
	v_fma_f16 v77, v57, s5, v77
	;; [unrolled: 1-line block ×4, first 2 shown]
	v_add_f16_sdwa v75, v66, v75 dst_sel:DWORD dst_unused:UNUSED_PAD src0_sel:WORD_1 src1_sel:DWORD
	v_fma_f16 v77, v67, s4, v77
	v_fma_f16 v63, v64, s5, v63
	v_add_f16_e32 v40, v40, v25
	v_fma_f16 v71, v61, s4, v71
	v_add_f16_e32 v75, v66, v75
	v_mul_f16_e32 v78, 0x38b4, v77
	v_fma_f16 v61, v61, s4, v63
	v_fma_f16 v63, v74, s10, v73
	v_add_f16_e32 v40, v40, v23
	v_add_f16_e32 v72, v72, v5
	v_fma_f16 v78, v75, s12, v78
	v_sub_f16_sdwa v63, v63, v66 dst_sel:DWORD dst_unused:UNUSED_PAD src0_sel:DWORD src1_sel:WORD_1
	v_fma_f16 v58, v58, s0, v76
	v_add_f16_e32 v40, v40, v4
	v_add_f16_e32 v72, v72, v21
	;; [unrolled: 1-line block ×3, first 2 shown]
	v_fma_f16 v57, v57, s1, v58
	v_sub_f16_e32 v58, v71, v78
	v_sub_f16_e32 v55, v65, v55
	v_add_f16_e32 v40, v40, v31
	v_add_f16_e32 v72, v72, v17
	v_fma_f16 v57, v67, s4, v57
	v_pack_b32_f16 v55, v58, v55
	v_mul_f16_e32 v58, 0x3a79, v63
	v_add_f16_e32 v79, v40, v72
	v_add_f16_e32 v80, v71, v78
	v_fma_f16 v58, v57, s1, -v58
	v_pack_b32_f16 v79, v79, v80
	v_mul_i32_i24_e32 v80, 10, v18
	v_sub_f16_e32 v40, v40, v72
	v_add_f16_e32 v64, v61, v58
	v_lshl_add_u32 v80, v80, 1, v59
	v_pack_b32_f16 v40, v64, v40
	ds_write2_b32 v80, v40, v55 offset0:2 offset1:3
	v_add_f16_e32 v40, v35, v39
	v_fma_f16 v0, v40, -0.5, v0
	v_sub_f16_e32 v40, v19, v35
	v_sub_f16_e32 v55, v34, v39
	v_add_f16_e32 v40, v40, v55
	v_fma_f16 v55, v48, s10, v0
	v_fma_f16 v0, v48, s0, v0
	;; [unrolled: 1-line block ×3, first 2 shown]
	v_sub_f16_e32 v55, v19, v34
	v_sub_f16_e32 v19, v43, v44
	;; [unrolled: 1-line block ×3, first 2 shown]
	v_add_f16_e32 v64, v19, v34
	v_add_f16_e32 v34, v42, v43
	;; [unrolled: 1-line block ×4, first 2 shown]
	v_fma_f16 v0, v3, s5, v0
	v_fma_f16 v3, v40, s4, v48
	v_sub_f16_e32 v48, v35, v39
	v_sub_f16_e32 v35, v44, v43
	v_add_f16_e32 v66, v34, v46
	v_sub_f16_e32 v34, v45, v46
	v_add_f16_e32 v34, v35, v34
	v_add_f16_sdwa v35, v54, v37 dst_sel:DWORD dst_unused:UNUSED_PAD src0_sel:DWORD src1_sel:WORD_1
	v_add_f16_sdwa v35, v35, v36 dst_sel:DWORD dst_unused:UNUSED_PAD src0_sel:DWORD src1_sel:WORD_1
	;; [unrolled: 1-line block ×3, first 2 shown]
	v_add_f16_e32 v19, v44, v45
	v_add_f16_sdwa v45, v35, v38 dst_sel:DWORD dst_unused:UNUSED_PAD src0_sel:DWORD src1_sel:WORD_1
	v_mul_f16_e32 v35, 0xb8b4, v53
	v_fma_f16 v65, v19, -0.5, v42
	v_add_f16_e32 v19, v43, v46
	v_pk_add_f16 v36, v36, v37 neg_lo:[0,1] neg_hi:[0,1]
	v_pk_add_f16 v37, v37, v38
	v_pk_add_f16 v11, v11, v38 neg_lo:[0,1] neg_hi:[0,1]
	v_fma_f16 v46, v56, s12, v35
	v_sub_f16_e32 v35, v61, v58
	v_sub_f16_e32 v38, v62, v68
	v_fma_f16 v19, v19, -0.5, v42
	v_pack_b32_f16 v35, v38, v35
	ds_write_b32 v80, v35 offset:16
	v_fma_f16 v35, v55, s0, v19
	v_fma_f16 v19, v55, s10, v19
	;; [unrolled: 1-line block ×4, first 2 shown]
	v_pack_b32_f16 v19, v19, v35
	v_mul_f16_e32 v34, 0x34f2, v34
	v_pk_add_f16 v53, v34, v19 op_sel_hi:[0,1]
	v_pk_fma_f16 v7, v37, 0.5, v7 op_sel_hi:[1,0,1] neg_lo:[1,0,0] neg_hi:[1,0,0]
	v_pk_mul_f16 v19, v51, s0 op_sel_hi:[1,0]
	v_pk_add_f16 v11, v36, v11
	v_pk_add_f16 v34, v19, v7 op_sel:[1,0] op_sel_hi:[0,1]
	v_pk_add_f16 v7, v7, v19 op_sel:[0,1] op_sel_hi:[1,0] neg_lo:[0,1] neg_hi:[0,1]
	v_pk_mul_f16 v19, v50, s1 op_sel_hi:[1,0]
	s_mov_b32 s14, 0x34f23b9c
	v_pk_add_f16 v34, v34, v19 op_sel:[0,1] op_sel_hi:[1,0] neg_lo:[0,1] neg_hi:[0,1]
	v_pk_add_f16 v7, v19, v7 op_sel:[1,0] op_sel_hi:[0,1]
	v_pk_fma_f16 v34, v11, s4, v34 op_sel_hi:[1,0,1]
	v_pk_fma_f16 v7, v11, s4, v7 op_sel_hi:[1,0,1]
	v_lshrrev_b32_e32 v19, 16, v34
	v_mul_f16_e32 v11, 0x34f2, v7
	v_fma_f16 v11, v19, s0, v11
	v_mul_f16_e32 v19, 0x34f2, v34
	v_lshrrev_b32_e32 v35, 16, v7
	v_fma_f16 v0, v40, s4, v0
	v_fma_f16 v19, v35, s0, -v19
	s_mov_b32 s13, 0x34f2bb9c
	v_pk_mul_f16 v7, v7, s14
	ds_write2_b32 v80, v79, v69 offset1:1
	v_pk_fma_f16 v50, v34, s13, v7 op_sel:[0,0,1] op_sel_hi:[1,1,0] neg_lo:[0,0,1] neg_hi:[0,0,1]
	v_add_f16_e32 v7, v3, v11
	v_sub_f16_e32 v3, v3, v11
	v_add_f16_e32 v11, v0, v19
	v_sub_f16_e32 v0, v0, v19
	v_fma_f16 v19, v48, s10, v65
	v_fma_f16 v19, v55, s5, v19
	;; [unrolled: 1-line block ×3, first 2 shown]
	v_pack_b32_f16 v7, v7, v11
	v_add_f16_e32 v11, v66, v45
	ds_write_b32 v1, v7 offset:4
	v_add_f16_e32 v7, v51, v46
	v_pk_add_f16 v54, v53, v50
	v_lshlrev_b32_e32 v19, 1, v10
	ds_write_b16 v1, v0 offset:16
	v_pack_b32_f16 v0, v11, v7
	s_movk_i32 s15, 0xffee
	v_lshl_add_u32 v39, v14, 1, v59
	v_alignbit_b32 v54, v54, v54, 16
	s_load_dwordx2 s[2:3], s[2:3], 0x0
	ds_write_b16 v1, v3 offset:14
	v_add_u32_e32 v3, v59, v19
	v_lshl_add_u32 v34, v26, 1, v59
	v_add3_u32 v7, 0, v19, v15
	v_lshl_add_u32 v38, v20, 1, v59
	v_lshl_add_u32 v40, v28, 1, v59
	;; [unrolled: 1-line block ×6, first 2 shown]
	s_waitcnt lgkmcnt(0)
	; wave barrier
	s_waitcnt lgkmcnt(0)
	v_mad_i32_i24 v19, v18, s15, v80
	ds_read_u16 v44, v39
	ds_read_u16 v58, v40
	;; [unrolled: 1-line block ×4, first 2 shown]
	ds_read_u16 v62, v7 offset:320
	ds_read_u16 v67, v7 offset:352
	;; [unrolled: 1-line block ×7, first 2 shown]
	ds_read_u16 v43, v11
	ds_read_u16 v73, v35
	;; [unrolled: 1-line block ×4, first 2 shown]
	ds_read_u16 v76, v7 offset:480
	ds_read_u16 v78, v7 offset:448
	ds_read_u16 v79, v38
	ds_read_u16 v81, v19
	ds_read_u16 v82, v7 offset:608
	s_waitcnt lgkmcnt(0)
	; wave barrier
	s_waitcnt lgkmcnt(0)
	ds_write2_b32 v1, v0, v54 offset1:1
	v_fma_f16 v0, v48, s0, v65
	v_fma_f16 v0, v55, s1, v0
	v_mul_f16_e32 v48, 0x3a79, v52
	v_fma_f16 v0, v64, s4, v0
	v_fma_f16 v48, v49, s5, -v48
	v_bfi_b32 v49, s11, v51, v53
	v_bfi_b32 v46, s11, v46, v50
	v_sub_f16_e32 v45, v66, v45
	v_pk_add_f16 v46, v49, v46 neg_lo:[0,1] neg_hi:[0,1]
	v_add_f16_e32 v49, v0, v48
	v_pack_b32_f16 v45, v49, v45
	ds_write2_b32 v1, v45, v46 offset0:2 offset1:3
	v_sub_f16_e32 v0, v0, v48
	v_sub_f16_e32 v45, v53, v50
	v_pack_b32_f16 v0, v45, v0
	v_add_f16_sdwa v6, v47, v6 dst_sel:DWORD dst_unused:UNUSED_PAD src0_sel:DWORD src1_sel:WORD_1
	ds_write_b32 v1, v0 offset:16
	v_sub_f16_e32 v0, v25, v31
	v_sub_f16_e32 v1, v23, v4
	;; [unrolled: 1-line block ×4, first 2 shown]
	v_add_f16_e32 v25, v29, v41
	v_add_f16_sdwa v5, v6, v5 dst_sel:DWORD dst_unused:UNUSED_PAD src0_sel:DWORD src1_sel:WORD_1
	v_add_f16_e32 v4, v4, v23
	v_add_f16_e32 v23, v32, v33
	v_fma_f16 v25, v25, -0.5, v27
	v_add_f16_sdwa v5, v5, v21 dst_sel:DWORD dst_unused:UNUSED_PAD src0_sel:DWORD src1_sel:WORD_1
	v_fma_f16 v23, v23, -0.5, v27
	v_add_f16_e32 v27, v27, v29
	v_sub_f16_e32 v29, v32, v29
	v_sub_f16_e32 v31, v33, v41
	v_add_f16_sdwa v5, v5, v17 dst_sel:DWORD dst_unused:UNUSED_PAD src0_sel:DWORD src1_sel:WORD_1
	v_fma_f16 v17, v1, s0, v25
	v_fma_f16 v21, v1, s10, v25
	v_add_f16_e32 v29, v29, v31
	v_fma_f16 v17, v0, s5, v17
	v_fma_f16 v21, v0, s1, v21
	v_pack_b32_f16 v17, v21, v17
	v_mul_f16_e32 v21, 0x34f2, v29
	v_add_f16_e32 v27, v27, v32
	v_pk_add_f16 v17, v21, v17 op_sel_hi:[0,1]
	v_fma_f16 v21, v0, s10, v23
	v_add_f16_e32 v27, v27, v33
	v_mul_f16_e32 v6, 0xb8b4, v75
	v_fma_f16 v21, v1, s5, v21
	v_fma_f16 v0, v0, s0, v23
	v_add_f16_e32 v27, v27, v41
	v_fma_f16 v6, v77, s12, v6
	v_pk_mul_f16 v2, v2, s14
	v_fma_f16 v21, v4, s4, v21
	v_fma_f16 v0, v1, s1, v0
	v_mul_f16_e32 v1, 0x3a79, v57
	v_pk_fma_f16 v2, v60, s13, v2 op_sel:[0,0,1] op_sel_hi:[1,1,0] neg_lo:[0,0,1] neg_hi:[0,0,1]
	v_add_f16_e32 v25, v27, v5
	v_add_f16_e32 v29, v21, v6
	v_fma_f16 v0, v4, s4, v0
	v_fma_f16 v1, v63, s5, -v1
	v_pack_b32_f16 v25, v25, v29
	v_pk_add_f16 v29, v17, v2
	v_sub_f16_e32 v4, v27, v5
	v_add_f16_e32 v5, v0, v1
	v_sub_f16_e32 v0, v0, v1
	v_bfi_b32 v1, s11, v21, v17
	v_sub_f16_e32 v17, v17, v2
	v_pack_b32_f16 v0, v17, v0
	ds_write_b32 v80, v0 offset:16
	v_add_u32_e32 v0, -10, v10
	v_cmp_gt_u32_e64 s[0:1], 10, v10
	v_alignbit_b32 v29, v29, v29, 16
	v_bfi_b32 v2, s11, v6, v2
	v_cndmask_b32_e64 v17, v0, v10, s[0:1]
	s_movk_i32 s0, 0xcd
	v_mul_lo_u16_sdwa v27, v14, s0 dst_sel:DWORD dst_unused:UNUSED_PAD src0_sel:BYTE_0 src1_sel:DWORD
	v_lshrrev_b16_e32 v27, 11, v27
	ds_write2_b32 v80, v25, v29 offset1:1
	v_pk_add_f16 v1, v1, v2 neg_lo:[0,1] neg_hi:[0,1]
	v_pack_b32_f16 v2, v5, v4
	v_mul_i32_i24_e32 v32, 3, v17
	v_mov_b32_e32 v33, 0
	v_mul_lo_u16_e32 v29, 10, v27
	ds_write2_b32 v80, v2, v1 offset0:2 offset1:3
	v_lshl_add_u64 v[0:1], v[32:33], 2, s[8:9]
	v_mov_b32_e32 v25, 3
	v_sub_u16_e32 v29, v14, v29
	s_waitcnt lgkmcnt(0)
	; wave barrier
	s_waitcnt lgkmcnt(0)
	global_load_dwordx3 v[4:6], v[0:1], off
	v_mul_u32_u24_sdwa v31, v29, v25 dst_sel:DWORD dst_unused:UNUSED_PAD src0_sel:BYTE_0 src1_sel:DWORD
	v_lshlrev_b32_e32 v31, 2, v31
	global_load_dwordx3 v[46:48], v31, s[8:9]
	v_mul_lo_u16_sdwa v0, v18, s0 dst_sel:DWORD dst_unused:UNUSED_PAD src0_sel:BYTE_0 src1_sel:DWORD
	v_lshrrev_b16_e32 v21, 11, v0
	v_mul_lo_u16_e32 v0, 10, v21
	v_sub_u16_e32 v23, v18, v0
	v_mul_u32_u24_sdwa v0, v23, v25 dst_sel:DWORD dst_unused:UNUSED_PAD src0_sel:BYTE_0 src1_sel:DWORD
	v_lshlrev_b32_e32 v0, 2, v0
	global_load_dwordx3 v[0:2], v0, s[8:9]
	v_mul_lo_u16_sdwa v31, v24, s0 dst_sel:DWORD dst_unused:UNUSED_PAD src0_sel:BYTE_0 src1_sel:DWORD
	v_lshrrev_b16_e32 v31, 11, v31
	v_mul_lo_u16_e32 v32, 10, v31
	v_sub_u16_e32 v32, v24, v32
	;; [unrolled: 7-line block ×3, first 2 shown]
	v_mul_u32_u24_sdwa v25, v45, v25 dst_sel:DWORD dst_unused:UNUSED_PAD src0_sel:BYTE_0 src1_sel:DWORD
	v_lshlrev_b32_e32 v25, 2, v25
	global_load_dwordx3 v[54:56], v25, s[8:9]
	ds_read_u16 v25, v34
	ds_read_u16 v49, v7 offset:320
	ds_read_u16 v53, v7 offset:352
	;; [unrolled: 1-line block ×6, first 2 shown]
	ds_read_u16 v65, v3
	v_cmp_lt_u32_e64 s[0:1], 9, v10
	v_lshlrev_b32_e32 v17, 1, v17
	s_waitcnt vmcnt(4) lgkmcnt(7)
	v_mul_f16_sdwa v66, v25, v4 dst_sel:DWORD dst_unused:UNUSED_PAD src0_sel:DWORD src1_sel:WORD_1
	v_fma_f16 v66, v61, v4, -v66
	v_mul_f16_sdwa v61, v61, v4 dst_sel:DWORD dst_unused:UNUSED_PAD src0_sel:DWORD src1_sel:WORD_1
	v_fma_f16 v4, v25, v4, v61
	s_waitcnt lgkmcnt(6)
	v_mul_f16_sdwa v25, v49, v5 dst_sel:DWORD dst_unused:UNUSED_PAD src0_sel:DWORD src1_sel:WORD_1
	v_mul_f16_sdwa v61, v62, v5 dst_sel:DWORD dst_unused:UNUSED_PAD src0_sel:DWORD src1_sel:WORD_1
	v_fma_f16 v25, v62, v5, -v25
	v_fma_f16 v5, v49, v5, v61
	ds_read_u16 v61, v38
	s_waitcnt lgkmcnt(3)
	v_mul_f16_sdwa v49, v63, v6 dst_sel:DWORD dst_unused:UNUSED_PAD src0_sel:DWORD src1_sel:WORD_1
	v_mul_f16_sdwa v62, v76, v6 dst_sel:DWORD dst_unused:UNUSED_PAD src0_sel:DWORD src1_sel:WORD_1
	v_fma_f16 v49, v76, v6, -v49
	v_fma_f16 v6, v63, v6, v62
	s_waitcnt vmcnt(2) lgkmcnt(0)
	v_mul_f16_sdwa v84, v61, v0 dst_sel:DWORD dst_unused:UNUSED_PAD src0_sel:DWORD src1_sel:WORD_1
	v_fma_f16 v84, v79, v0, -v84
	v_mul_f16_sdwa v79, v79, v0 dst_sel:DWORD dst_unused:UNUSED_PAD src0_sel:DWORD src1_sel:WORD_1
	ds_read_u16 v62, v7 offset:512
	ds_read_u16 v63, v7 offset:544
	;; [unrolled: 1-line block ×4, first 2 shown]
	ds_read_u16 v77, v40
	ds_read_u16 v80, v39
	;; [unrolled: 1-line block ×3, first 2 shown]
	v_fma_f16 v0, v61, v0, v79
	v_mul_f16_sdwa v61, v53, v1 dst_sel:DWORD dst_unused:UNUSED_PAD src0_sel:DWORD src1_sel:WORD_1
	v_fma_f16 v61, v67, v1, -v61
	v_mul_f16_sdwa v67, v67, v1 dst_sel:DWORD dst_unused:UNUSED_PAD src0_sel:DWORD src1_sel:WORD_1
	v_fma_f16 v1, v53, v1, v67
	s_waitcnt lgkmcnt(6)
	v_mul_f16_sdwa v53, v62, v2 dst_sel:DWORD dst_unused:UNUSED_PAD src0_sel:DWORD src1_sel:WORD_1
	v_mul_f16_sdwa v67, v70, v2 dst_sel:DWORD dst_unused:UNUSED_PAD src0_sel:DWORD src1_sel:WORD_1
	v_fma_f16 v53, v70, v2, -v53
	v_fma_f16 v2, v62, v2, v67
	s_waitcnt lgkmcnt(2)
	v_mul_f16_sdwa v62, v77, v46 dst_sel:DWORD dst_unused:UNUSED_PAD src0_sel:DWORD src1_sel:WORD_1
	v_fma_f16 v62, v58, v46, -v62
	v_mul_f16_sdwa v58, v58, v46 dst_sel:DWORD dst_unused:UNUSED_PAD src0_sel:DWORD src1_sel:WORD_1
	v_fma_f16 v46, v77, v46, v58
	v_mul_f16_sdwa v58, v57, v47 dst_sel:DWORD dst_unused:UNUSED_PAD src0_sel:DWORD src1_sel:WORD_1
	v_fma_f16 v58, v68, v47, -v58
	v_mul_f16_sdwa v67, v68, v47 dst_sel:DWORD dst_unused:UNUSED_PAD src0_sel:DWORD src1_sel:WORD_1
	ds_read_u16 v68, v35
	v_fma_f16 v47, v57, v47, v67
	v_mul_f16_sdwa v57, v63, v48 dst_sel:DWORD dst_unused:UNUSED_PAD src0_sel:DWORD src1_sel:WORD_1
	v_fma_f16 v57, v71, v48, -v57
	v_mul_f16_sdwa v67, v71, v48 dst_sel:DWORD dst_unused:UNUSED_PAD src0_sel:DWORD src1_sel:WORD_1
	s_waitcnt vmcnt(1) lgkmcnt(0)
	v_mul_f16_sdwa v71, v68, v50 dst_sel:DWORD dst_unused:UNUSED_PAD src0_sel:DWORD src1_sel:WORD_1
	v_fma_f16 v71, v73, v50, -v71
	v_mul_f16_sdwa v73, v73, v50 dst_sel:DWORD dst_unused:UNUSED_PAD src0_sel:DWORD src1_sel:WORD_1
	v_fma_f16 v48, v63, v48, v67
	ds_read_u16 v63, v37
	ds_read_u16 v67, v36
	;; [unrolled: 1-line block ×3, first 2 shown]
	v_fma_f16 v50, v68, v50, v73
	v_mul_f16_sdwa v68, v60, v51 dst_sel:DWORD dst_unused:UNUSED_PAD src0_sel:DWORD src1_sel:WORD_1
	v_fma_f16 v68, v69, v51, -v68
	v_mul_f16_sdwa v69, v69, v51 dst_sel:DWORD dst_unused:UNUSED_PAD src0_sel:DWORD src1_sel:WORD_1
	v_fma_f16 v51, v60, v51, v69
	v_mul_f16_sdwa v60, v75, v52 dst_sel:DWORD dst_unused:UNUSED_PAD src0_sel:DWORD src1_sel:WORD_1
	v_mul_f16_sdwa v69, v72, v52 dst_sel:DWORD dst_unused:UNUSED_PAD src0_sel:DWORD src1_sel:WORD_1
	v_fma_f16 v60, v72, v52, -v60
	v_fma_f16 v52, v75, v52, v69
	s_waitcnt vmcnt(0) lgkmcnt(2)
	v_mul_f16_sdwa v69, v63, v54 dst_sel:DWORD dst_unused:UNUSED_PAD src0_sel:DWORD src1_sel:WORD_1
	v_mul_f16_sdwa v72, v74, v54 dst_sel:DWORD dst_unused:UNUSED_PAD src0_sel:DWORD src1_sel:WORD_1
	v_fma_f16 v69, v74, v54, -v69
	v_fma_f16 v54, v63, v54, v72
	v_mul_f16_sdwa v63, v64, v55 dst_sel:DWORD dst_unused:UNUSED_PAD src0_sel:DWORD src1_sel:WORD_1
	v_mul_f16_sdwa v72, v78, v55 dst_sel:DWORD dst_unused:UNUSED_PAD src0_sel:DWORD src1_sel:WORD_1
	v_fma_f16 v63, v78, v55, -v63
	v_fma_f16 v55, v64, v55, v72
	v_mul_f16_sdwa v64, v76, v56 dst_sel:DWORD dst_unused:UNUSED_PAD src0_sel:DWORD src1_sel:WORD_1
	v_mul_f16_sdwa v72, v82, v56 dst_sel:DWORD dst_unused:UNUSED_PAD src0_sel:DWORD src1_sel:WORD_1
	v_fma_f16 v64, v82, v56, -v64
	v_fma_f16 v56, v76, v56, v72
	v_mov_b32_e32 v72, 0x50
	v_cndmask_b32_e64 v72, 0, v72, s[0:1]
	v_add_u32_e32 v72, 0, v72
	v_add3_u32 v72, v72, v17, v15
	v_sub_f16_e32 v17, v59, v25
	v_sub_f16_e32 v49, v66, v49
	v_fma_f16 v25, v59, 2.0, -v17
	v_fma_f16 v59, v66, 2.0, -v49
	v_sub_f16_e32 v6, v4, v6
	v_sub_f16_e32 v59, v25, v59
	v_fma_f16 v4, v4, 2.0, -v6
	v_sub_f16_e32 v6, v17, v6
	v_fma_f16 v25, v25, 2.0, -v59
	v_fma_f16 v17, v17, 2.0, -v6
	s_waitcnt lgkmcnt(0)
	; wave barrier
	s_waitcnt lgkmcnt(0)
	ds_write_b16 v72, v25
	ds_write_b16 v72, v17 offset:20
	ds_write_b16 v72, v59 offset:40
	;; [unrolled: 1-line block ×3, first 2 shown]
	s_movk_i32 s0, 0x50
	v_mov_b32_e32 v17, 1
	v_mad_u32_u24 v6, v21, s0, 0
	v_lshlrev_b32_sdwa v21, v17, v23 dst_sel:DWORD dst_unused:UNUSED_PAD src0_sel:DWORD src1_sel:BYTE_0
	v_add3_u32 v6, v6, v21, v15
	v_sub_f16_e32 v21, v81, v61
	v_sub_f16_e32 v25, v84, v53
	v_fma_f16 v23, v81, 2.0, -v21
	v_fma_f16 v53, v84, 2.0, -v25
	v_sub_f16_e32 v53, v23, v53
	v_fma_f16 v23, v23, 2.0, -v53
	v_sub_f16_e32 v2, v0, v2
	ds_write_b16 v6, v23
	v_sub_f16_e32 v23, v21, v2
	v_fma_f16 v21, v21, 2.0, -v23
	ds_write_b16 v6, v21 offset:20
	ds_write_b16 v6, v53 offset:40
	ds_write_b16 v6, v23 offset:60
	v_mad_u32_u24 v21, v27, s0, 0
	v_lshlrev_b32_sdwa v23, v17, v29 dst_sel:DWORD dst_unused:UNUSED_PAD src0_sel:DWORD src1_sel:BYTE_0
	v_add3_u32 v27, v21, v23, v15
	v_sub_f16_e32 v21, v44, v58
	v_sub_f16_e32 v29, v62, v57
	v_fma_f16 v23, v44, 2.0, -v21
	v_fma_f16 v44, v62, 2.0, -v29
	v_sub_f16_e32 v44, v23, v44
	v_fma_f16 v23, v23, 2.0, -v44
	v_sub_f16_e32 v48, v46, v48
	ds_write_b16 v27, v23
	v_sub_f16_e32 v23, v21, v48
	v_fma_f16 v21, v21, 2.0, -v23
	ds_write_b16 v27, v21 offset:20
	ds_write_b16 v27, v44 offset:40
	ds_write_b16 v27, v23 offset:60
	;; [unrolled: 16-line block ×3, first 2 shown]
	v_lshlrev_b32_sdwa v17, v17, v45 dst_sel:DWORD dst_unused:UNUSED_PAD src0_sel:DWORD src1_sel:BYTE_0
	v_mad_u32_u24 v21, v41, s0, 0
	v_add3_u32 v41, v21, v17, v15
	v_sub_f16_e32 v17, v42, v63
	v_fma_f16 v21, v42, 2.0, -v17
	v_sub_f16_e32 v42, v69, v64
	v_fma_f16 v23, v69, 2.0, -v42
	;; [unrolled: 2-line block ×3, first 2 shown]
	v_sub_f16_e32 v43, v54, v56
	ds_write_b16 v41, v21
	v_sub_f16_e32 v21, v17, v43
	v_fma_f16 v17, v17, 2.0, -v21
	v_sub_f16_e32 v5, v65, v5
	ds_write_b16 v41, v17 offset:20
	ds_write_b16 v41, v23 offset:40
	;; [unrolled: 1-line block ×3, first 2 shown]
	v_fma_f16 v17, v65, 2.0, -v5
	v_sub_f16_e32 v4, v17, v4
	v_sub_f16_e32 v1, v83, v1
	v_fma_f16 v45, v17, 2.0, -v4
	v_fma_f16 v0, v0, 2.0, -v2
	v_fma_f16 v2, v83, 2.0, -v1
	s_waitcnt lgkmcnt(0)
	; wave barrier
	s_waitcnt lgkmcnt(0)
	ds_read_u16 v21, v39
	ds_read_u16 v53, v40
	;; [unrolled: 1-line block ×4, first 2 shown]
	ds_read_u16 v58, v7 offset:320
	ds_read_u16 v59, v7 offset:352
	;; [unrolled: 1-line block ×7, first 2 shown]
	ds_read_u16 v23, v11
	ds_read_u16 v65, v35
	;; [unrolled: 1-line block ×4, first 2 shown]
	ds_read_u16 v68, v7 offset:480
	ds_read_u16 v69, v7 offset:448
	ds_read_u16 v71, v38
	ds_read_u16 v73, v19
	ds_read_u16 v74, v7 offset:608
	s_waitcnt lgkmcnt(0)
	; wave barrier
	s_waitcnt lgkmcnt(0)
	ds_write_b16 v72, v45
	v_add_f16_e32 v45, v5, v49
	v_sub_f16_e32 v0, v2, v0
	v_fma_f16 v5, v5, 2.0, -v45
	v_fma_f16 v2, v2, 2.0, -v0
	ds_write_b16 v72, v5 offset:20
	ds_write_b16 v72, v4 offset:40
	;; [unrolled: 1-line block ×3, first 2 shown]
	ds_write_b16 v6, v2
	v_add_f16_e32 v2, v1, v25
	v_fma_f16 v1, v1, 2.0, -v2
	ds_write_b16 v6, v1 offset:20
	ds_write_b16 v6, v0 offset:40
	;; [unrolled: 1-line block ×3, first 2 shown]
	v_sub_f16_e32 v1, v80, v47
	v_fma_f16 v0, v46, 2.0, -v48
	v_fma_f16 v2, v80, 2.0, -v1
	v_sub_f16_e32 v0, v2, v0
	v_fma_f16 v2, v2, 2.0, -v0
	ds_write_b16 v27, v2
	v_add_f16_e32 v2, v1, v29
	v_fma_f16 v1, v1, 2.0, -v2
	ds_write_b16 v27, v1 offset:20
	ds_write_b16 v27, v0 offset:40
	;; [unrolled: 1-line block ×3, first 2 shown]
	v_sub_f16_e32 v1, v70, v51
	v_fma_f16 v0, v50, 2.0, -v44
	v_fma_f16 v2, v70, 2.0, -v1
	v_sub_f16_e32 v0, v2, v0
	v_fma_f16 v2, v2, 2.0, -v0
	ds_write_b16 v31, v2
	v_add_f16_e32 v2, v1, v32
	v_fma_f16 v1, v1, 2.0, -v2
	ds_write_b16 v31, v1 offset:20
	ds_write_b16 v31, v0 offset:40
	;; [unrolled: 1-line block ×3, first 2 shown]
	v_sub_f16_e32 v0, v67, v55
	v_fma_f16 v1, v67, 2.0, -v0
	v_fma_f16 v2, v54, 2.0, -v43
	v_sub_f16_e32 v2, v1, v2
	v_add_f16_e32 v4, v0, v42
	v_fma_f16 v1, v1, 2.0, -v2
	v_fma_f16 v0, v0, 2.0, -v4
	ds_write_b16 v41, v1
	ds_write_b16 v41, v0 offset:20
	ds_write_b16 v41, v2 offset:40
	;; [unrolled: 1-line block ×3, first 2 shown]
	v_mul_u32_u24_e32 v0, 3, v10
	v_lshlrev_b32_e32 v25, 2, v0
	s_waitcnt lgkmcnt(0)
	; wave barrier
	s_waitcnt lgkmcnt(0)
	global_load_dwordx3 v[0:2], v25, s[8:9] offset:120
	v_mul_i32_i24_e32 v32, 3, v18
	v_lshl_add_u64 v[4:5], v[32:33], 2, s[8:9]
	global_load_dwordx3 v[4:6], v[4:5], off offset:120
	v_add_u32_e32 v27, -8, v10
	v_cmp_gt_u32_e64 s[0:1], 40, v14
	s_nop 1
	v_cndmask_b32_e64 v27, v27, v14, s[0:1]
	v_mul_i32_i24_e32 v32, 3, v27
	v_lshl_add_u64 v[54:55], v[32:33], 2, s[8:9]
	global_load_dwordx3 v[42:44], v[54:55], off offset:120
	global_load_dwordx3 v[46:48], v25, s[8:9] offset:216
	global_load_dwordx3 v[50:52], v25, s[8:9] offset:408
	ds_read_u16 v25, v34
	ds_read_u16 v29, v7 offset:320
	ds_read_u16 v31, v7 offset:352
	;; [unrolled: 1-line block ×6, first 2 shown]
	ds_read_u16 v54, v3
	v_cmp_lt_u32_e64 s[0:1], 39, v14
	v_lshlrev_b32_e32 v27, 1, v27
	s_waitcnt vmcnt(4) lgkmcnt(7)
	v_mul_f16_sdwa v55, v25, v0 dst_sel:DWORD dst_unused:UNUSED_PAD src0_sel:DWORD src1_sel:WORD_1
	v_fma_f16 v55, v57, v0, -v55
	v_mul_f16_sdwa v57, v57, v0 dst_sel:DWORD dst_unused:UNUSED_PAD src0_sel:DWORD src1_sel:WORD_1
	v_fma_f16 v0, v25, v0, v57
	s_waitcnt lgkmcnt(6)
	v_mul_f16_sdwa v25, v29, v1 dst_sel:DWORD dst_unused:UNUSED_PAD src0_sel:DWORD src1_sel:WORD_1
	v_mul_f16_sdwa v57, v58, v1 dst_sel:DWORD dst_unused:UNUSED_PAD src0_sel:DWORD src1_sel:WORD_1
	v_fma_f16 v25, v58, v1, -v25
	v_fma_f16 v1, v29, v1, v57
	s_waitcnt lgkmcnt(2)
	v_mul_f16_sdwa v29, v45, v2 dst_sel:DWORD dst_unused:UNUSED_PAD src0_sel:DWORD src1_sel:WORD_1
	v_mul_f16_sdwa v57, v68, v2 dst_sel:DWORD dst_unused:UNUSED_PAD src0_sel:DWORD src1_sel:WORD_1
	v_fma_f16 v29, v68, v2, -v29
	v_fma_f16 v2, v45, v2, v57
	ds_read_u16 v45, v38
	ds_read_u16 v57, v7 offset:512
	ds_read_u16 v58, v7 offset:544
	ds_read_u16 v67, v7 offset:576
	ds_read_u16 v68, v7 offset:608
	ds_read_u16 v70, v40
	ds_read_u16 v72, v39
	;; [unrolled: 1-line block ×3, first 2 shown]
	s_waitcnt vmcnt(3) lgkmcnt(7)
	v_mul_f16_sdwa v76, v45, v4 dst_sel:DWORD dst_unused:UNUSED_PAD src0_sel:DWORD src1_sel:WORD_1
	v_fma_f16 v76, v71, v4, -v76
	v_mul_f16_sdwa v71, v71, v4 dst_sel:DWORD dst_unused:UNUSED_PAD src0_sel:DWORD src1_sel:WORD_1
	v_fma_f16 v4, v45, v4, v71
	v_mul_f16_sdwa v45, v31, v5 dst_sel:DWORD dst_unused:UNUSED_PAD src0_sel:DWORD src1_sel:WORD_1
	v_fma_f16 v45, v59, v5, -v45
	v_mul_f16_sdwa v59, v59, v5 dst_sel:DWORD dst_unused:UNUSED_PAD src0_sel:DWORD src1_sel:WORD_1
	v_fma_f16 v31, v31, v5, v59
	s_waitcnt lgkmcnt(6)
	v_mul_f16_sdwa v5, v57, v6 dst_sel:DWORD dst_unused:UNUSED_PAD src0_sel:DWORD src1_sel:WORD_1
	v_mul_f16_sdwa v59, v62, v6 dst_sel:DWORD dst_unused:UNUSED_PAD src0_sel:DWORD src1_sel:WORD_1
	v_fma_f16 v5, v62, v6, -v5
	v_fma_f16 v6, v57, v6, v59
	s_waitcnt vmcnt(2) lgkmcnt(2)
	v_mul_f16_sdwa v57, v70, v42 dst_sel:DWORD dst_unused:UNUSED_PAD src0_sel:DWORD src1_sel:WORD_1
	v_fma_f16 v57, v53, v42, -v57
	v_mul_f16_sdwa v53, v53, v42 dst_sel:DWORD dst_unused:UNUSED_PAD src0_sel:DWORD src1_sel:WORD_1
	v_fma_f16 v42, v70, v42, v53
	v_mul_f16_sdwa v53, v32, v43 dst_sel:DWORD dst_unused:UNUSED_PAD src0_sel:DWORD src1_sel:WORD_1
	v_fma_f16 v53, v60, v43, -v53
	v_mul_f16_sdwa v59, v60, v43 dst_sel:DWORD dst_unused:UNUSED_PAD src0_sel:DWORD src1_sel:WORD_1
	ds_read_u16 v60, v35
	v_fma_f16 v59, v32, v43, v59
	v_mul_f16_sdwa v32, v58, v44 dst_sel:DWORD dst_unused:UNUSED_PAD src0_sel:DWORD src1_sel:WORD_1
	v_fma_f16 v32, v63, v44, -v32
	v_mul_f16_sdwa v43, v63, v44 dst_sel:DWORD dst_unused:UNUSED_PAD src0_sel:DWORD src1_sel:WORD_1
	s_waitcnt vmcnt(1) lgkmcnt(0)
	v_mul_f16_sdwa v63, v60, v46 dst_sel:DWORD dst_unused:UNUSED_PAD src0_sel:DWORD src1_sel:WORD_1
	v_fma_f16 v63, v65, v46, -v63
	v_mul_f16_sdwa v65, v65, v46 dst_sel:DWORD dst_unused:UNUSED_PAD src0_sel:DWORD src1_sel:WORD_1
	v_fma_f16 v43, v58, v44, v43
	ds_read_u16 v44, v37
	ds_read_u16 v58, v36
	;; [unrolled: 1-line block ×3, first 2 shown]
	v_fma_f16 v60, v60, v46, v65
	v_mul_f16_sdwa v46, v41, v47 dst_sel:DWORD dst_unused:UNUSED_PAD src0_sel:DWORD src1_sel:WORD_1
	v_fma_f16 v46, v61, v47, -v46
	v_mul_f16_sdwa v61, v61, v47 dst_sel:DWORD dst_unused:UNUSED_PAD src0_sel:DWORD src1_sel:WORD_1
	v_fma_f16 v61, v41, v47, v61
	v_mul_f16_sdwa v41, v67, v48 dst_sel:DWORD dst_unused:UNUSED_PAD src0_sel:DWORD src1_sel:WORD_1
	v_mul_f16_sdwa v47, v64, v48 dst_sel:DWORD dst_unused:UNUSED_PAD src0_sel:DWORD src1_sel:WORD_1
	v_fma_f16 v41, v64, v48, -v41
	v_fma_f16 v47, v67, v48, v47
	s_waitcnt vmcnt(0) lgkmcnt(2)
	v_mul_f16_sdwa v48, v44, v50 dst_sel:DWORD dst_unused:UNUSED_PAD src0_sel:DWORD src1_sel:WORD_1
	v_mul_f16_sdwa v64, v66, v50 dst_sel:DWORD dst_unused:UNUSED_PAD src0_sel:DWORD src1_sel:WORD_1
	v_fma_f16 v48, v66, v50, -v48
	v_fma_f16 v64, v44, v50, v64
	v_mul_f16_sdwa v44, v49, v51 dst_sel:DWORD dst_unused:UNUSED_PAD src0_sel:DWORD src1_sel:WORD_1
	v_mul_f16_sdwa v50, v69, v51 dst_sel:DWORD dst_unused:UNUSED_PAD src0_sel:DWORD src1_sel:WORD_1
	v_fma_f16 v44, v69, v51, -v44
	v_fma_f16 v65, v49, v51, v50
	v_mov_b32_e32 v51, 0x140
	v_cndmask_b32_e64 v51, 0, v51, s[0:1]
	v_add_u32_e32 v51, 0, v51
	v_sub_f16_e32 v25, v56, v25
	v_sub_f16_e32 v29, v55, v29
	v_add3_u32 v15, v51, v27, v15
	v_fma_f16 v27, v56, 2.0, -v25
	v_fma_f16 v51, v55, 2.0, -v29
	v_sub_f16_e32 v2, v0, v2
	v_sub_f16_e32 v51, v27, v51
	v_fma_f16 v0, v0, 2.0, -v2
	v_sub_f16_e32 v2, v25, v2
	v_fma_f16 v27, v27, 2.0, -v51
	v_fma_f16 v25, v25, 2.0, -v2
	s_waitcnt lgkmcnt(0)
	; wave barrier
	s_waitcnt lgkmcnt(0)
	ds_write_b16 v7, v27
	ds_write_b16 v7, v25 offset:80
	ds_write_b16 v7, v51 offset:160
	;; [unrolled: 1-line block ×3, first 2 shown]
	v_sub_f16_e32 v2, v73, v45
	v_sub_f16_e32 v27, v76, v5
	v_fma_f16 v25, v73, 2.0, -v2
	v_fma_f16 v5, v76, 2.0, -v27
	v_sub_f16_e32 v5, v25, v5
	v_fma_f16 v25, v25, 2.0, -v5
	v_sub_f16_e32 v6, v4, v6
	ds_write_b16 v19, v25
	v_fma_f16 v25, v4, 2.0, -v6
	v_sub_f16_e32 v4, v2, v6
	v_fma_f16 v2, v2, 2.0, -v4
	ds_write_b16 v19, v2 offset:80
	ds_write_b16 v19, v5 offset:160
	;; [unrolled: 1-line block ×3, first 2 shown]
	v_sub_f16_e32 v2, v21, v53
	v_fma_f16 v4, v21, 2.0, -v2
	v_sub_f16_e32 v21, v57, v32
	v_fma_f16 v5, v57, 2.0, -v21
	;; [unrolled: 2-line block ×3, first 2 shown]
	ds_write_b16 v15, v4
	v_sub_f16_e32 v4, v42, v43
	v_fma_f16 v55, v42, 2.0, -v4
	v_sub_f16_e32 v4, v2, v4
	v_fma_f16 v2, v2, 2.0, -v4
	ds_write_b16 v15, v2 offset:80
	ds_write_b16 v15, v5 offset:160
	;; [unrolled: 1-line block ×3, first 2 shown]
	v_sub_f16_e32 v2, v23, v46
	v_fma_f16 v4, v23, 2.0, -v2
	v_sub_f16_e32 v23, v63, v41
	v_fma_f16 v5, v63, 2.0, -v23
	v_sub_f16_e32 v5, v4, v5
	v_sub_f16_e32 v57, v54, v1
	v_mul_f16_sdwa v49, v68, v52 dst_sel:DWORD dst_unused:UNUSED_PAD src0_sel:DWORD src1_sel:WORD_1
	v_fma_f16 v4, v4, 2.0, -v5
	v_sub_f16_e32 v56, v60, v47
	v_fma_f16 v1, v54, 2.0, -v57
	v_fma_f16 v49, v74, v52, -v49
	v_mul_f16_sdwa v50, v74, v52 dst_sel:DWORD dst_unused:UNUSED_PAD src0_sel:DWORD src1_sel:WORD_1
	ds_write_b16 v7, v4 offset:336
	v_sub_f16_e32 v4, v2, v56
	v_sub_f16_e32 v54, v1, v0
	;; [unrolled: 1-line block ×3, first 2 shown]
	v_fma_f16 v50, v68, v52, v50
	v_fma_f16 v2, v2, 2.0, -v4
	v_fma_f16 v63, v1, 2.0, -v54
	;; [unrolled: 1-line block ×3, first 2 shown]
	v_sub_f16_e32 v17, v48, v49
	ds_write_b16 v7, v2 offset:416
	ds_write_b16 v7, v5 offset:496
	v_sub_f16_e32 v66, v64, v50
	v_fma_f16 v2, v48, 2.0, -v17
	v_sub_f16_e32 v2, v1, v2
	ds_write_b16 v7, v4 offset:576
	v_sub_f16_e32 v4, v0, v66
	v_fma_f16 v1, v1, 2.0, -v2
	v_fma_f16 v0, v0, 2.0, -v4
	ds_write_b16 v7, v1 offset:368
	ds_write_b16 v7, v0 offset:448
	;; [unrolled: 1-line block ×4, first 2 shown]
	s_waitcnt lgkmcnt(0)
	; wave barrier
	s_waitcnt lgkmcnt(0)
	ds_read_u16 v0, v3
	ds_read_u16 v5, v11
	ds_read_u16 v4, v7 offset:384
	ds_read_u16 v6, v7 offset:416
	;; [unrolled: 1-line block ×6, first 2 shown]
	ds_read_u16 v44, v34
	ds_read_u16 v47, v37
	;; [unrolled: 1-line block ×4, first 2 shown]
	ds_read_u16 v50, v7 offset:512
	ds_read_u16 v51, v7 offset:544
	;; [unrolled: 1-line block ×3, first 2 shown]
	ds_read_u16 v49, v40
	ds_read_u16 v42, v39
	;; [unrolled: 1-line block ×4, first 2 shown]
	ds_read_u16 v53, v7 offset:608
	v_add_f16_e32 v29, v57, v29
	v_fma_f16 v57, v57, 2.0, -v29
	s_waitcnt lgkmcnt(0)
	; wave barrier
	s_waitcnt lgkmcnt(0)
	ds_write_b16 v7, v63
	ds_write_b16 v7, v57 offset:80
	ds_write_b16 v7, v54 offset:160
	;; [unrolled: 1-line block ×3, first 2 shown]
	v_sub_f16_e32 v29, v75, v31
	v_fma_f16 v31, v75, 2.0, -v29
	v_sub_f16_e32 v25, v31, v25
	v_add_f16_e32 v27, v29, v27
	v_fma_f16 v31, v31, 2.0, -v25
	v_fma_f16 v29, v29, 2.0, -v27
	ds_write_b16 v19, v31
	ds_write_b16 v19, v29 offset:80
	ds_write_b16 v19, v25 offset:160
	;; [unrolled: 1-line block ×3, first 2 shown]
	v_sub_f16_e32 v25, v72, v59
	v_fma_f16 v27, v72, 2.0, -v25
	v_sub_f16_e32 v29, v27, v55
	v_add_f16_e32 v21, v25, v21
	v_fma_f16 v27, v27, 2.0, -v29
	v_fma_f16 v25, v25, 2.0, -v21
	ds_write_b16 v15, v27
	ds_write_b16 v15, v25 offset:80
	ds_write_b16 v15, v29 offset:160
	;; [unrolled: 1-line block ×3, first 2 shown]
	v_sub_f16_e32 v25, v62, v61
	v_fma_f16 v15, v60, 2.0, -v56
	v_fma_f16 v27, v62, 2.0, -v25
	v_sub_f16_e32 v15, v27, v15
	v_fma_f16 v27, v27, 2.0, -v15
	ds_write_b16 v7, v27 offset:336
	v_sub_f16_e32 v27, v58, v65
	v_fma_f16 v21, v64, 2.0, -v66
	v_add_f16_e32 v23, v25, v23
	v_fma_f16 v29, v58, 2.0, -v27
	s_movk_i32 s0, 0x140
	v_fma_f16 v25, v25, 2.0, -v23
	v_sub_f16_e32 v21, v29, v21
	v_add_f16_e32 v17, v27, v17
	v_fma_f16 v29, v29, 2.0, -v21
	v_fma_f16 v27, v27, 2.0, -v17
	ds_write_b16 v7, v25 offset:416
	ds_write_b16 v7, v15 offset:496
	;; [unrolled: 1-line block ×7, first 2 shown]
	s_waitcnt lgkmcnt(0)
	; wave barrier
	s_waitcnt lgkmcnt(0)
	s_and_saveexec_b64 s[4:5], vcc
	s_cbranch_execz .LBB0_15
; %bb.14:
	v_mov_b32_e32 v31, v33
	v_mov_b32_e32 v23, v33
	v_mov_b32_e32 v29, v33
	v_mov_b32_e32 v21, v33
	v_lshl_add_u64 v[30:31], v[30:31], 2, s[8:9]
	v_lshl_add_u64 v[22:23], v[22:23], 2, s[8:9]
	;; [unrolled: 1-line block ×4, first 2 shown]
	global_load_dword v30, v[30:31], off offset:600
	v_mov_b32_e32 v27, v33
	global_load_dword v22, v[22:23], off offset:600
	v_mov_b32_e32 v17, v33
	global_load_dword v23, v[28:29], off offset:600
	v_lshl_add_u64 v[16:17], v[16:17], 2, s[8:9]
	global_load_dword v28, v[20:21], off offset:600
	v_lshl_add_u64 v[20:21], v[26:27], 2, s[8:9]
	global_load_dword v20, v[20:21], off offset:600
	v_mov_b32_e32 v25, v33
	global_load_dword v21, v[16:17], off offset:600
	v_lshl_add_u64 v[16:17], v[24:25], 2, s[8:9]
	global_load_dword v16, v[16:17], off offset:600
	v_mov_b32_e32 v15, v33
	v_lshl_add_u64 v[14:15], v[14:15], 2, s[8:9]
	ds_read_u16 v17, v40
	ds_read_u16 v24, v39
	;; [unrolled: 1-line block ×4, first 2 shown]
	global_load_dword v31, v[14:15], off offset:600
	v_mov_b32_e32 v19, v33
	v_lshl_add_u64 v[14:15], v[18:19], 2, s[8:9]
	ds_read_u16 v38, v7 offset:608
	ds_read_u16 v39, v7 offset:576
	;; [unrolled: 1-line block ×4, first 2 shown]
	global_load_dword v18, v[14:15], off offset:600
	ds_read_u16 v19, v7 offset:480
	ds_read_u16 v55, v7 offset:448
	ds_read_u16 v37, v37
	ds_read_u16 v36, v36
	;; [unrolled: 1-line block ×4, first 2 shown]
	v_mov_b32_e32 v11, v33
	v_lshl_add_u64 v[14:15], v[10:11], 2, s[8:9]
	global_load_dword v11, v[14:15], off offset:600
	v_mul_lo_u32 v26, s3, v12
	v_mul_lo_u32 v27, s2, v13
	v_mad_u64_u32 v[12:13], s[2:3], s2, v12, 0
	v_add3_u32 v13, v13, v27, v26
	s_mov_b32 s1, 0xcccccccd
	s_movk_i32 s2, 0xa0
	s_waitcnt vmcnt(9) lgkmcnt(9)
	v_mul_f16_sdwa v14, v38, v30 dst_sel:DWORD dst_unused:UNUSED_PAD src0_sel:DWORD src1_sel:WORD_1
	v_mul_f16_sdwa v15, v53, v30 dst_sel:DWORD dst_unused:UNUSED_PAD src0_sel:DWORD src1_sel:WORD_1
	s_waitcnt vmcnt(8) lgkmcnt(8)
	v_mul_f16_sdwa v26, v39, v22 dst_sel:DWORD dst_unused:UNUSED_PAD src0_sel:DWORD src1_sel:WORD_1
	v_fma_f16 v14, v53, v30, -v14
	v_fma_f16 v15, v30, v38, v15
	v_fma_f16 v26, v52, v22, -v26
	s_waitcnt vmcnt(6) lgkmcnt(6)
	v_mul_f16_sdwa v58, v54, v28 dst_sel:DWORD dst_unused:UNUSED_PAD src0_sel:DWORD src1_sel:WORD_1
	v_fma_f16 v30, v50, v28, -v58
	v_mul_f16_sdwa v27, v52, v22 dst_sel:DWORD dst_unused:UNUSED_PAD src0_sel:DWORD src1_sel:WORD_1
	v_mul_f16_sdwa v33, v40, v23 dst_sel:DWORD dst_unused:UNUSED_PAD src0_sel:DWORD src1_sel:WORD_1
	s_waitcnt vmcnt(5) lgkmcnt(5)
	v_mul_f16_sdwa v60, v19, v20 dst_sel:DWORD dst_unused:UNUSED_PAD src0_sel:DWORD src1_sel:WORD_1
	v_mul_f16_sdwa v61, v45, v20 dst_sel:DWORD dst_unused:UNUSED_PAD src0_sel:DWORD src1_sel:WORD_1
	v_sub_f16_e32 v14, v47, v14
	v_sub_f16_e32 v26, v46, v26
	;; [unrolled: 1-line block ×3, first 2 shown]
	v_fma_f16 v22, v22, v39, v27
	v_fma_f16 v27, v51, v23, -v33
	v_fma_f16 v33, v45, v20, -v60
	v_fma_f16 v38, v47, 2.0, -v14
	v_fma_f16 v39, v46, 2.0, -v26
	;; [unrolled: 1-line block ×3, first 2 shown]
	v_fma_f16 v19, v20, v19, v61
	ds_read_u16 v20, v34
	ds_read_u16 v34, v7 offset:320
	ds_read_u16 v46, v7 offset:416
	;; [unrolled: 1-line block ×4, first 2 shown]
	ds_read_u16 v3, v3
	s_waitcnt vmcnt(4) lgkmcnt(10)
	v_mul_f16_sdwa v48, v55, v21 dst_sel:DWORD dst_unused:UNUSED_PAD src0_sel:DWORD src1_sel:WORD_1
	v_fma_f16 v48, v41, v21, -v48
	v_mul_f16_sdwa v41, v41, v21 dst_sel:DWORD dst_unused:UNUSED_PAD src0_sel:DWORD src1_sel:WORD_1
	v_fma_f16 v21, v21, v55, v41
	s_waitcnt vmcnt(3) lgkmcnt(3)
	v_mul_f16_sdwa v41, v46, v16 dst_sel:DWORD dst_unused:UNUSED_PAD src0_sel:DWORD src1_sel:WORD_1
	v_fma_f16 v41, v6, v16, -v41
	v_mul_f16_sdwa v57, v51, v23 dst_sel:DWORD dst_unused:UNUSED_PAD src0_sel:DWORD src1_sel:WORD_1
	v_sub_f16_e32 v27, v49, v27
	v_sub_f16_e32 v41, v5, v41
	v_fma_f16 v23, v23, v40, v57
	v_fma_f16 v40, v49, 2.0, -v27
	v_fma_f16 v49, v5, 2.0, -v41
	v_mul_f16_sdwa v5, v6, v16 dst_sel:DWORD dst_unused:UNUSED_PAD src0_sel:DWORD src1_sel:WORD_1
	v_fma_f16 v5, v16, v46, v5
	v_sub_f16_e32 v16, v56, v5
	s_waitcnt vmcnt(2) lgkmcnt(2)
	v_mul_f16_sdwa v5, v47, v31 dst_sel:DWORD dst_unused:UNUSED_PAD src0_sel:DWORD src1_sel:WORD_1
	v_fma_f16 v5, v4, v31, -v5
	v_mul_f16_sdwa v4, v4, v31 dst_sel:DWORD dst_unused:UNUSED_PAD src0_sel:DWORD src1_sel:WORD_1
	v_fma_f16 v4, v31, v47, v4
	v_sub_f16_e32 v31, v24, v4
	s_waitcnt vmcnt(1) lgkmcnt(1)
	v_mul_f16_sdwa v4, v7, v18 dst_sel:DWORD dst_unused:UNUSED_PAD src0_sel:DWORD src1_sel:WORD_1
	v_fma_f16 v4, v2, v18, -v4
	v_mul_f16_sdwa v2, v2, v18 dst_sel:DWORD dst_unused:UNUSED_PAD src0_sel:DWORD src1_sel:WORD_1
	v_fma_f16 v2, v18, v7, v2
	v_sub_f16_e32 v18, v29, v2
	s_waitcnt vmcnt(0)
	v_mul_f16_sdwa v2, v34, v11 dst_sel:DWORD dst_unused:UNUSED_PAD src0_sel:DWORD src1_sel:WORD_1
	v_fma_f16 v2, v1, v11, -v2
	v_sub_f16_e32 v6, v0, v2
	v_sub_f16_e32 v47, v32, v4
	v_fma_f16 v4, v0, 2.0, -v6
	v_mul_f16_sdwa v0, v1, v11 dst_sel:DWORD dst_unused:UNUSED_PAD src0_sel:DWORD src1_sel:WORD_1
	v_fma_f16 v0, v11, v34, v0
	s_waitcnt lgkmcnt(0)
	v_sub_f16_e32 v7, v3, v0
	v_mul_hi_u32 v0, v10, s1
	v_lshrrev_b32_e32 v0, 7, v0
	v_mul_lo_u32 v0, v0, s2
	v_sub_u32_e32 v11, v10, v0
	v_mad_u64_u32 v[0:1], s[4:5], s16, v11, 0
	v_mov_b32_e32 v2, v1
	v_mul_f16_sdwa v59, v50, v28 dst_sel:DWORD dst_unused:UNUSED_PAD src0_sel:DWORD src1_sel:WORD_1
	v_sub_f16_e32 v50, v42, v5
	v_fma_f16 v5, v3, 2.0, -v7
	v_mad_u64_u32 v[2:3], s[4:5], s17, v11, v[2:3]
	v_mov_b32_e32 v1, v2
	v_lshl_add_u64 v[2:3], v[12:13], 2, s[6:7]
	v_lshl_add_u64 v[2:3], v[8:9], 2, v[2:3]
	;; [unrolled: 1-line block ×3, first 2 shown]
	v_pack_b32_f16 v4, v4, v5
	v_add_u32_e32 v5, 0xa0, v11
	global_store_dword v[0:1], v4, off
	v_mad_u64_u32 v[0:1], s[4:5], s16, v5, 0
	v_mov_b32_e32 v4, v1
	v_mad_u64_u32 v[4:5], s[4:5], s17, v5, v[4:5]
	v_mov_b32_e32 v1, v4
	v_lshl_add_u64 v[0:1], v[0:1], 2, v[2:3]
	v_pack_b32_f16 v4, v6, v7
	global_store_dword v[0:1], v4, off
	v_add_u32_e32 v0, 16, v10
	v_mul_hi_u32 v1, v0, s1
	v_lshrrev_b32_e32 v1, 7, v1
	v_mul_lo_u32 v4, v1, s2
	v_sub_u32_e32 v0, v0, v4
	v_mad_u64_u32 v[0:1], s[4:5], v1, s0, v[0:1]
	v_mad_u64_u32 v[4:5], s[4:5], s16, v0, 0
	v_mov_b32_e32 v6, v5
	v_mad_u64_u32 v[6:7], s[4:5], s17, v0, v[6:7]
	v_fma_f16 v32, v32, 2.0, -v47
	v_fma_f16 v29, v29, 2.0, -v18
	v_mov_b32_e32 v5, v6
	v_lshl_add_u64 v[4:5], v[4:5], 2, v[2:3]
	v_pack_b32_f16 v1, v32, v29
	global_store_dword v[4:5], v1, off
	v_add_u32_e32 v5, 0xa0, v0
	v_mad_u64_u32 v[0:1], s[4:5], s16, v5, 0
	v_mov_b32_e32 v4, v1
	v_mad_u64_u32 v[4:5], s[4:5], s17, v5, v[4:5]
	v_mov_b32_e32 v1, v4
	v_lshl_add_u64 v[0:1], v[0:1], 2, v[2:3]
	v_pack_b32_f16 v4, v47, v18
	global_store_dword v[0:1], v4, off
	v_add_u32_e32 v0, 32, v10
	v_mul_hi_u32 v1, v0, s1
	v_lshrrev_b32_e32 v1, 7, v1
	v_mul_lo_u32 v4, v1, s2
	v_sub_u32_e32 v0, v0, v4
	v_mad_u64_u32 v[0:1], s[4:5], v1, s0, v[0:1]
	v_mad_u64_u32 v[4:5], s[4:5], s16, v0, 0
	v_mov_b32_e32 v6, v5
	v_mad_u64_u32 v[6:7], s[4:5], s17, v0, v[6:7]
	v_fma_f16 v42, v42, 2.0, -v50
	v_fma_f16 v24, v24, 2.0, -v31
	v_mov_b32_e32 v5, v6
	v_lshl_add_u64 v[4:5], v[4:5], 2, v[2:3]
	v_pack_b32_f16 v1, v42, v24
	global_store_dword v[4:5], v1, off
	v_add_u32_e32 v5, 0xa0, v0
	v_mad_u64_u32 v[0:1], s[4:5], s16, v5, 0
	v_mov_b32_e32 v4, v1
	v_mad_u64_u32 v[4:5], s[4:5], s17, v5, v[4:5]
	v_mov_b32_e32 v1, v4
	v_lshl_add_u64 v[0:1], v[0:1], 2, v[2:3]
	v_pack_b32_f16 v4, v50, v31
	global_store_dword v[0:1], v4, off
	v_add_u32_e32 v0, 48, v10
	v_mul_hi_u32 v1, v0, s1
	v_lshrrev_b32_e32 v1, 7, v1
	v_mul_lo_u32 v4, v1, s2
	v_sub_u32_e32 v0, v0, v4
	v_mad_u64_u32 v[0:1], s[4:5], v1, s0, v[0:1]
	v_mad_u64_u32 v[4:5], s[4:5], s16, v0, 0
	v_mov_b32_e32 v6, v5
	v_mad_u64_u32 v[6:7], s[4:5], s17, v0, v[6:7]
	v_fma_f16 v46, v56, 2.0, -v16
	v_mov_b32_e32 v5, v6
	v_lshl_add_u64 v[4:5], v[4:5], 2, v[2:3]
	v_pack_b32_f16 v1, v49, v46
	global_store_dword v[4:5], v1, off
	v_add_u32_e32 v5, 0xa0, v0
	v_mad_u64_u32 v[0:1], s[4:5], s16, v5, 0
	v_mov_b32_e32 v4, v1
	v_mad_u64_u32 v[4:5], s[4:5], s17, v5, v[4:5]
	v_mov_b32_e32 v1, v4
	v_lshl_add_u64 v[0:1], v[0:1], 2, v[2:3]
	v_pack_b32_f16 v4, v41, v16
	global_store_dword v[0:1], v4, off
	v_add_u32_e32 v0, 64, v10
	v_mul_hi_u32 v1, v0, s1
	v_lshrrev_b32_e32 v1, 7, v1
	v_mul_lo_u32 v4, v1, s2
	v_sub_u32_e32 v0, v0, v4
	v_mad_u64_u32 v[0:1], s[4:5], v1, s0, v[0:1]
	v_mad_u64_u32 v[4:5], s[4:5], s16, v0, 0
	v_mov_b32_e32 v6, v5
	v_sub_f16_e32 v48, v43, v48
	v_sub_f16_e32 v21, v36, v21
	v_mad_u64_u32 v[6:7], s[4:5], s17, v0, v[6:7]
	v_fma_f16 v43, v43, 2.0, -v48
	v_fma_f16 v36, v36, 2.0, -v21
	v_mov_b32_e32 v5, v6
	v_lshl_add_u64 v[4:5], v[4:5], 2, v[2:3]
	v_pack_b32_f16 v1, v43, v36
	global_store_dword v[4:5], v1, off
	v_add_u32_e32 v5, 0xa0, v0
	v_mad_u64_u32 v[0:1], s[4:5], s16, v5, 0
	v_mov_b32_e32 v4, v1
	v_mad_u64_u32 v[4:5], s[4:5], s17, v5, v[4:5]
	v_mov_b32_e32 v1, v4
	v_lshl_add_u64 v[0:1], v[0:1], 2, v[2:3]
	v_pack_b32_f16 v4, v48, v21
	global_store_dword v[0:1], v4, off
	v_add_u32_e32 v0, 0x50, v10
	v_mul_hi_u32 v1, v0, s1
	v_lshrrev_b32_e32 v1, 7, v1
	v_mul_lo_u32 v4, v1, s2
	v_sub_u32_e32 v0, v0, v4
	v_mad_u64_u32 v[0:1], s[4:5], v1, s0, v[0:1]
	v_mad_u64_u32 v[4:5], s[4:5], s16, v0, 0
	v_mov_b32_e32 v6, v5
	v_sub_f16_e32 v33, v44, v33
	v_sub_f16_e32 v19, v20, v19
	v_mad_u64_u32 v[6:7], s[4:5], s17, v0, v[6:7]
	v_fma_f16 v44, v44, 2.0, -v33
	v_fma_f16 v20, v20, 2.0, -v19
	v_mov_b32_e32 v5, v6
	v_lshl_add_u64 v[4:5], v[4:5], 2, v[2:3]
	v_pack_b32_f16 v1, v44, v20
	global_store_dword v[4:5], v1, off
	v_add_u32_e32 v5, 0xa0, v0
	v_mad_u64_u32 v[0:1], s[4:5], s16, v5, 0
	v_mov_b32_e32 v4, v1
	v_mad_u64_u32 v[4:5], s[4:5], s17, v5, v[4:5]
	v_mov_b32_e32 v1, v4
	v_lshl_add_u64 v[0:1], v[0:1], 2, v[2:3]
	v_pack_b32_f16 v4, v33, v19
	global_store_dword v[0:1], v4, off
	v_add_u32_e32 v0, 0x60, v10
	v_mul_hi_u32 v1, v0, s1
	v_lshrrev_b32_e32 v1, 7, v1
	v_mul_lo_u32 v4, v1, s2
	v_sub_u32_e32 v0, v0, v4
	v_mad_u64_u32 v[0:1], s[4:5], v1, s0, v[0:1]
	v_mad_u64_u32 v[4:5], s[4:5], s16, v0, 0
	v_fma_f16 v28, v28, v54, v59
	v_mov_b32_e32 v6, v5
	v_sub_f16_e32 v28, v25, v28
	v_mad_u64_u32 v[6:7], s[4:5], s17, v0, v[6:7]
	v_fma_f16 v25, v25, 2.0, -v28
	v_mov_b32_e32 v5, v6
	v_lshl_add_u64 v[4:5], v[4:5], 2, v[2:3]
	v_pack_b32_f16 v1, v45, v25
	global_store_dword v[4:5], v1, off
	v_add_u32_e32 v5, 0xa0, v0
	v_mad_u64_u32 v[0:1], s[4:5], s16, v5, 0
	v_mov_b32_e32 v4, v1
	v_mad_u64_u32 v[4:5], s[4:5], s17, v5, v[4:5]
	v_mov_b32_e32 v1, v4
	v_lshl_add_u64 v[0:1], v[0:1], 2, v[2:3]
	v_pack_b32_f16 v4, v30, v28
	global_store_dword v[0:1], v4, off
	v_add_u32_e32 v0, 0x70, v10
	v_mul_hi_u32 v1, v0, s1
	v_lshrrev_b32_e32 v1, 7, v1
	v_mul_lo_u32 v4, v1, s2
	v_sub_u32_e32 v0, v0, v4
	v_mad_u64_u32 v[0:1], s[4:5], v1, s0, v[0:1]
	v_mad_u64_u32 v[4:5], s[4:5], s16, v0, 0
	v_mov_b32_e32 v6, v5
	v_sub_f16_e32 v23, v17, v23
	v_mad_u64_u32 v[6:7], s[4:5], s17, v0, v[6:7]
	v_fma_f16 v17, v17, 2.0, -v23
	v_mov_b32_e32 v5, v6
	v_lshl_add_u64 v[4:5], v[4:5], 2, v[2:3]
	v_pack_b32_f16 v1, v40, v17
	global_store_dword v[4:5], v1, off
	v_add_u32_e32 v5, 0xa0, v0
	v_mad_u64_u32 v[0:1], s[4:5], s16, v5, 0
	v_mov_b32_e32 v4, v1
	v_mad_u64_u32 v[4:5], s[4:5], s17, v5, v[4:5]
	v_mov_b32_e32 v1, v4
	v_lshl_add_u64 v[0:1], v[0:1], 2, v[2:3]
	v_pack_b32_f16 v4, v27, v23
	global_store_dword v[0:1], v4, off
	v_add_u32_e32 v0, 0x80, v10
	v_mul_hi_u32 v1, v0, s1
	v_lshrrev_b32_e32 v1, 7, v1
	v_mul_lo_u32 v4, v1, s2
	v_sub_u32_e32 v0, v0, v4
	v_mad_u64_u32 v[0:1], s[4:5], v1, s0, v[0:1]
	v_mad_u64_u32 v[4:5], s[4:5], s16, v0, 0
	v_mov_b32_e32 v6, v5
	v_sub_f16_e32 v22, v35, v22
	v_mad_u64_u32 v[6:7], s[4:5], s17, v0, v[6:7]
	v_fma_f16 v35, v35, 2.0, -v22
	v_mov_b32_e32 v5, v6
	v_lshl_add_u64 v[4:5], v[4:5], 2, v[2:3]
	v_pack_b32_f16 v1, v39, v35
	global_store_dword v[4:5], v1, off
	v_add_u32_e32 v5, 0xa0, v0
	v_mad_u64_u32 v[0:1], s[4:5], s16, v5, 0
	v_mov_b32_e32 v4, v1
	v_mad_u64_u32 v[4:5], s[4:5], s17, v5, v[4:5]
	v_mov_b32_e32 v1, v4
	v_lshl_add_u64 v[0:1], v[0:1], 2, v[2:3]
	v_pack_b32_f16 v4, v26, v22
	global_store_dword v[0:1], v4, off
	v_add_u32_e32 v0, 0x90, v10
	v_mul_hi_u32 v1, v0, s1
	v_lshrrev_b32_e32 v1, 7, v1
	v_mul_lo_u32 v4, v1, s2
	v_sub_u32_e32 v0, v0, v4
	v_mad_u64_u32 v[0:1], s[0:1], v1, s0, v[0:1]
	v_mad_u64_u32 v[4:5], s[0:1], s16, v0, 0
	v_mov_b32_e32 v6, v5
	v_sub_f16_e32 v15, v37, v15
	v_mad_u64_u32 v[6:7], s[0:1], s17, v0, v[6:7]
	v_fma_f16 v37, v37, 2.0, -v15
	v_mov_b32_e32 v5, v6
	v_lshl_add_u64 v[4:5], v[4:5], 2, v[2:3]
	v_pack_b32_f16 v1, v38, v37
	global_store_dword v[4:5], v1, off
	v_add_u32_e32 v5, 0xa0, v0
	v_mad_u64_u32 v[0:1], s[0:1], s16, v5, 0
	v_mov_b32_e32 v4, v1
	v_mad_u64_u32 v[4:5], s[0:1], s17, v5, v[4:5]
	v_mov_b32_e32 v1, v4
	v_lshl_add_u64 v[0:1], v[0:1], 2, v[2:3]
	v_pack_b32_f16 v2, v14, v15
	global_store_dword v[0:1], v2, off
.LBB0_15:
	s_endpgm
	.section	.rodata,"a",@progbits
	.p2align	6, 0x0
	.amdhsa_kernel fft_rtc_fwd_len320_factors_10_4_4_2_wgs_64_tpt_16_halfLds_half_op_CI_CI_sbrr_dirReg
		.amdhsa_group_segment_fixed_size 0
		.amdhsa_private_segment_fixed_size 0
		.amdhsa_kernarg_size 104
		.amdhsa_user_sgpr_count 2
		.amdhsa_user_sgpr_dispatch_ptr 0
		.amdhsa_user_sgpr_queue_ptr 0
		.amdhsa_user_sgpr_kernarg_segment_ptr 1
		.amdhsa_user_sgpr_dispatch_id 0
		.amdhsa_user_sgpr_kernarg_preload_length 0
		.amdhsa_user_sgpr_kernarg_preload_offset 0
		.amdhsa_user_sgpr_private_segment_size 0
		.amdhsa_uses_dynamic_stack 0
		.amdhsa_enable_private_segment 0
		.amdhsa_system_sgpr_workgroup_id_x 1
		.amdhsa_system_sgpr_workgroup_id_y 0
		.amdhsa_system_sgpr_workgroup_id_z 0
		.amdhsa_system_sgpr_workgroup_info 0
		.amdhsa_system_vgpr_workitem_id 0
		.amdhsa_next_free_vgpr 85
		.amdhsa_next_free_sgpr 32
		.amdhsa_accum_offset 88
		.amdhsa_reserve_vcc 1
		.amdhsa_float_round_mode_32 0
		.amdhsa_float_round_mode_16_64 0
		.amdhsa_float_denorm_mode_32 3
		.amdhsa_float_denorm_mode_16_64 3
		.amdhsa_dx10_clamp 1
		.amdhsa_ieee_mode 1
		.amdhsa_fp16_overflow 0
		.amdhsa_tg_split 0
		.amdhsa_exception_fp_ieee_invalid_op 0
		.amdhsa_exception_fp_denorm_src 0
		.amdhsa_exception_fp_ieee_div_zero 0
		.amdhsa_exception_fp_ieee_overflow 0
		.amdhsa_exception_fp_ieee_underflow 0
		.amdhsa_exception_fp_ieee_inexact 0
		.amdhsa_exception_int_div_zero 0
	.end_amdhsa_kernel
	.text
.Lfunc_end0:
	.size	fft_rtc_fwd_len320_factors_10_4_4_2_wgs_64_tpt_16_halfLds_half_op_CI_CI_sbrr_dirReg, .Lfunc_end0-fft_rtc_fwd_len320_factors_10_4_4_2_wgs_64_tpt_16_halfLds_half_op_CI_CI_sbrr_dirReg
                                        ; -- End function
	.section	.AMDGPU.csdata,"",@progbits
; Kernel info:
; codeLenInByte = 11096
; NumSgprs: 38
; NumVgprs: 85
; NumAgprs: 0
; TotalNumVgprs: 85
; ScratchSize: 0
; MemoryBound: 0
; FloatMode: 240
; IeeeMode: 1
; LDSByteSize: 0 bytes/workgroup (compile time only)
; SGPRBlocks: 4
; VGPRBlocks: 10
; NumSGPRsForWavesPerEU: 38
; NumVGPRsForWavesPerEU: 85
; AccumOffset: 88
; Occupancy: 5
; WaveLimiterHint : 1
; COMPUTE_PGM_RSRC2:SCRATCH_EN: 0
; COMPUTE_PGM_RSRC2:USER_SGPR: 2
; COMPUTE_PGM_RSRC2:TRAP_HANDLER: 0
; COMPUTE_PGM_RSRC2:TGID_X_EN: 1
; COMPUTE_PGM_RSRC2:TGID_Y_EN: 0
; COMPUTE_PGM_RSRC2:TGID_Z_EN: 0
; COMPUTE_PGM_RSRC2:TIDIG_COMP_CNT: 0
; COMPUTE_PGM_RSRC3_GFX90A:ACCUM_OFFSET: 21
; COMPUTE_PGM_RSRC3_GFX90A:TG_SPLIT: 0
	.text
	.p2alignl 6, 3212836864
	.fill 256, 4, 3212836864
	.type	__hip_cuid_452f08b486158ea1,@object ; @__hip_cuid_452f08b486158ea1
	.section	.bss,"aw",@nobits
	.globl	__hip_cuid_452f08b486158ea1
__hip_cuid_452f08b486158ea1:
	.byte	0                               ; 0x0
	.size	__hip_cuid_452f08b486158ea1, 1

	.ident	"AMD clang version 19.0.0git (https://github.com/RadeonOpenCompute/llvm-project roc-6.4.0 25133 c7fe45cf4b819c5991fe208aaa96edf142730f1d)"
	.section	".note.GNU-stack","",@progbits
	.addrsig
	.addrsig_sym __hip_cuid_452f08b486158ea1
	.amdgpu_metadata
---
amdhsa.kernels:
  - .agpr_count:     0
    .args:
      - .actual_access:  read_only
        .address_space:  global
        .offset:         0
        .size:           8
        .value_kind:     global_buffer
      - .offset:         8
        .size:           8
        .value_kind:     by_value
      - .actual_access:  read_only
        .address_space:  global
        .offset:         16
        .size:           8
        .value_kind:     global_buffer
      - .actual_access:  read_only
        .address_space:  global
        .offset:         24
        .size:           8
        .value_kind:     global_buffer
      - .actual_access:  read_only
        .address_space:  global
        .offset:         32
        .size:           8
        .value_kind:     global_buffer
      - .offset:         40
        .size:           8
        .value_kind:     by_value
      - .actual_access:  read_only
        .address_space:  global
        .offset:         48
        .size:           8
        .value_kind:     global_buffer
      - .actual_access:  read_only
        .address_space:  global
        .offset:         56
        .size:           8
        .value_kind:     global_buffer
      - .offset:         64
        .size:           4
        .value_kind:     by_value
      - .actual_access:  read_only
        .address_space:  global
        .offset:         72
        .size:           8
        .value_kind:     global_buffer
      - .actual_access:  read_only
        .address_space:  global
        .offset:         80
        .size:           8
        .value_kind:     global_buffer
      - .actual_access:  read_only
        .address_space:  global
        .offset:         88
        .size:           8
        .value_kind:     global_buffer
      - .actual_access:  write_only
        .address_space:  global
        .offset:         96
        .size:           8
        .value_kind:     global_buffer
    .group_segment_fixed_size: 0
    .kernarg_segment_align: 8
    .kernarg_segment_size: 104
    .language:       OpenCL C
    .language_version:
      - 2
      - 0
    .max_flat_workgroup_size: 64
    .name:           fft_rtc_fwd_len320_factors_10_4_4_2_wgs_64_tpt_16_halfLds_half_op_CI_CI_sbrr_dirReg
    .private_segment_fixed_size: 0
    .sgpr_count:     38
    .sgpr_spill_count: 0
    .symbol:         fft_rtc_fwd_len320_factors_10_4_4_2_wgs_64_tpt_16_halfLds_half_op_CI_CI_sbrr_dirReg.kd
    .uniform_work_group_size: 1
    .uses_dynamic_stack: false
    .vgpr_count:     85
    .vgpr_spill_count: 0
    .wavefront_size: 64
amdhsa.target:   amdgcn-amd-amdhsa--gfx950
amdhsa.version:
  - 1
  - 2
...

	.end_amdgpu_metadata
